;; amdgpu-corpus repo=ROCm/aiter kind=harvested arch=n/a opt=n/a

/root/src/amdgpu-assembly/repos/ROCm__aiter/hsa/gfx942/fmha_v3_bwd/bwd_hd128_bf16_causal_br_a32_rtz_psskddv_group.co:	file format elf64-amdgpu

Disassembly of section .text:

0000000000003e00 <_ZN5aiter51fmha_bwd_hd128_bf16_causal_br_a32_rtz_psskddv_groupE>:
	s_and_b32 s1, s1, 0xffff                                   // 000000003E00: 8601FF01 0000FFFF
	s_load_dwordx2 s[32:33], s[0:1], 0x0                       // 000000003E08: C0060800 00000000
	s_load_dwordx2 s[36:37], s[0:1], 0x10                      // 000000003E10: C0060900 00000010
	s_load_dwordx2 s[40:41], s[0:1], 0x20                      // 000000003E18: C0060A00 00000020
	s_load_dwordx2 s[8:9], s[0:1], 0x30                        // 000000003E20: C0060200 00000030
	s_load_dwordx2 s[12:13], s[0:1], 0x40                      // 000000003E28: C0060300 00000040
	s_load_dwordx2 s[16:17], s[0:1], 0x50                      // 000000003E30: C0060400 00000050
	s_load_dwordx2 s[20:21], s[0:1], 0x60                      // 000000003E38: C0060500 00000060
	s_load_dwordx2 s[24:25], s[0:1], 0x70                      // 000000003E40: C0060600 00000070
	s_load_dwordx2 s[28:29], s[0:1], 0x80                      // 000000003E48: C0060700 00000080
	s_load_dword s47, s[0:1], 0x90                             // 000000003E50: C0020BC0 00000090
	s_load_dword s48, s[0:1], 0xa0                             // 000000003E58: C0020C00 000000A0
	s_load_dword s78, s[0:1], 0xd0                             // 000000003E60: C0021380 000000D0
	s_load_dword s5, s[0:1], 0xf0                              // 000000003E68: C0020140 000000F0
	s_load_dword s44, s[0:1], 0x100                            // 000000003E70: C0020B00 00000100
	s_load_dword s79, s[0:1], 0x110                            // 000000003E78: C00213C0 00000110
	s_load_dword s6, s[0:1], 0x130                             // 000000003E80: C0020180 00000130
	s_load_dword s52, s[0:1], 0x140                            // 000000003E88: C0020D00 00000140
	s_load_dword s50, s[0:1], 0x160                            // 000000003E90: C0020C80 00000160
	s_load_dword s80, s[0:1], 0x190                            // 000000003E98: C0021400 00000190
	s_load_dword s7, s[0:1], 0x1b0                             // 000000003EA0: C00201C0 000001B0
	s_load_dword s81, s[0:1], 0x1c0                            // 000000003EA8: C0021440 000001C0
	s_load_dword s51, s[0:1], 0x1e0                            // 000000003EB0: C0020CC0 000001E0
	s_load_dword s82, s[0:1], 0x1f0                            // 000000003EB8: C0021480 000001F0
	s_load_dword s83, s[0:1], 0x210                            // 000000003EC0: C00214C0 00000210
	s_load_dword s53, s[0:1], 0x230                            // 000000003EC8: C0020D40 00000230
	s_load_dword s49, s[0:1], 0x240                            // 000000003ED0: C0020C40 00000240
	s_load_dwordx2 s[88:89], s[0:1], 0x250                     // 000000003ED8: C0061600 00000250
	s_load_dwordx2 s[92:93], s[0:1], 0x260                     // 000000003EE0: C0061700 00000260
	s_load_dwordx2 s[96:97], s[0:1], 0x270                     // 000000003EE8: C0061800 00000270
	s_load_dwordx2 s[100:101], s[0:1], 0x280                   // 000000003EF0: C0061900 00000280
	v_lshrrev_b32_e32 v1, 10, v0                               // 000000003EF8: 2002008A
	v_lshrrev_b32_e32 v2, 10, v1                               // 000000003EFC: 2004028A
	v_and_b32_e32 v2, 0x3ff, v2                                // 000000003F00: 260404FF 000003FF
	v_and_b32_e32 v1, 0x3ff, v1                                // 000000003F08: 260202FF 000003FF
	v_and_b32_e32 v0, 0x3ff, v0                                // 000000003F10: 260000FF 000003FF
	v_lshrrev_b32_e32 v3, 6, v0                                // 000000003F18: 20060086
	v_and_b32_e32 v0, 63, v0                                   // 000000003F1C: 260000BF
	s_mov_b32 s2, s2                                           // 000000003F20: BE820002
	s_mov_b32 s3, s3                                           // 000000003F24: BE830003
	s_mov_b32 s4, s4                                           // 000000003F28: BE840004
	v_readfirstlane_b32 s46, v3                                // 000000003F2C: 7E5C0503
	s_waitcnt lgkmcnt(0)                                       // 000000003F30: BF8CC07F
	s_mul_i32 s60, s4, 4                                       // 000000003F34: 923C8404
	s_add_u32 s88, s60, s88                                    // 000000003F38: 8058583C
	s_addc_u32 s89, 0, s89                                     // 000000003F3C: 82595980
	s_load_dwordx2 s[84:85], s[88:89], 0x0                     // 000000003F40: C006152C 00000000
	s_add_u32 s96, s60, s96                                    // 000000003F48: 8060603C
	s_addc_u32 s97, 0, s97                                     // 000000003F4C: 82616180
	s_load_dword s90, s[96:97], 0x0                            // 000000003F50: C00216B0 00000000
	s_add_u32 s92, s60, s92                                    // 000000003F58: 805C5C3C
	s_addc_u32 s93, 0, s93                                     // 000000003F5C: 825D5D80
	s_load_dwordx2 s[86:87], s[92:93], 0x0                     // 000000003F60: C00615AE 00000000
	s_add_u32 s100, s60, s100                                  // 000000003F68: 8064643C
	s_addc_u32 s101, 0, s101                                   // 000000003F6C: 82656580
	s_load_dword s94, s[100:101], 0x0                          // 000000003F70: C00217B2 00000000
	s_mov_b32 s11, 0x20000                                     // 000000003F78: BE8B00FF 00020000
	s_mov_b32 s15, 0x20000                                     // 000000003F80: BE8F00FF 00020000
	s_mov_b32 s19, 0x20000                                     // 000000003F88: BE9300FF 00020000
	s_mov_b32 s23, 0x20000                                     // 000000003F90: BE9700FF 00020000
	s_mov_b32 s27, 0x20000                                     // 000000003F98: BE9B00FF 00020000
	s_mov_b32 s31, 0x20000                                     // 000000003FA0: BE9F00FF 00020000
	s_mov_b32 s35, 0x20000                                     // 000000003FA8: BEA300FF 00020000
	s_mov_b32 s39, 0x20000                                     // 000000003FB0: BEA700FF 00020000
	s_mov_b32 s43, 0x20000                                     // 000000003FB8: BEAB00FF 00020000
	s_and_b32 s9, s9, 0xffff                                   // 000000003FC0: 8609FF09 0000FFFF
	s_and_b32 s13, s13, 0xffff                                 // 000000003FC8: 860DFF0D 0000FFFF
	s_and_b32 s17, s17, 0xffff                                 // 000000003FD0: 8611FF11 0000FFFF
	s_and_b32 s21, s21, 0xffff                                 // 000000003FD8: 8615FF15 0000FFFF
	s_and_b32 s25, s25, 0xffff                                 // 000000003FE0: 8619FF19 0000FFFF
	s_and_b32 s29, s29, 0xffff                                 // 000000003FE8: 861DFF1D 0000FFFF
	s_and_b32 s33, s33, 0xffff                                 // 000000003FF0: 8621FF21 0000FFFF
	s_and_b32 s37, s37, 0xffff                                 // 000000003FF8: 8625FF25 0000FFFF
	s_and_b32 s41, s41, 0xffff                                 // 000000004000: 8629FF29 0000FFFF
	s_or_b32 s9, s9, 0x40000                                   // 000000004008: 8709FF09 00040000
	s_or_b32 s13, s13, 0x40000                                 // 000000004010: 870DFF0D 00040000
	s_or_b32 s17, s17, 0x40000                                 // 000000004018: 8711FF11 00040000
	s_or_b32 s21, s21, 0x40000                                 // 000000004020: 8715FF15 00040000
	s_or_b32 s25, s25, 0x40000                                 // 000000004028: 8719FF19 00040000
	s_or_b32 s29, s29, 0x40000                                 // 000000004030: 871DFF1D 00040000
	s_or_b32 s33, s33, 0x40000                                 // 000000004038: 8721FF21 00040000
	s_or_b32 s37, s37, 0x40000                                 // 000000004040: 8725FF25 00040000
	s_or_b32 s41, s41, 0x40000                                 // 000000004048: 8729FF29 00040000
	v_accvgpr_write_b32 a255, 0                                // 000000004050: D3D940FF 18000080
	v_mov_b32_e32 v255, 0                                      // 000000004058: 7FFE0280
	s_mov_b32 s71, s3                                          // 00000000405C: BEC70003
	v_cvt_f32_u32_e32 v28, s44                                 // 000000004060: 7E380C2C
	s_sub_i32 s60, 0, s44                                      // 000000004064: 81BC2C80
	v_rcp_iflag_f32_e32 v28, v28                               // 000000004068: 7E38471C
	s_nop 0                                                    // 00000000406C: BF800000
	v_mul_f32_e32 v28, 0x4f7ffffe, v28                         // 000000004070: 0A3838FF 4F7FFFFE
	v_cvt_u32_f32_e32 v28, v28                                 // 000000004078: 7E380F1C
	v_mul_lo_u32 v29, s60, v28                                 // 00000000407C: D285001D 0002383C
	v_mul_hi_u32 v29, v28, v29                                 // 000000004084: D286001D 00023B1C
	v_add_u32_e32 v28, v28, v29                                // 00000000408C: 68383B1C
	v_mul_hi_u32 v28, s71, v28                                 // 000000004090: D286001C 00023847
	v_mul_lo_u32 v29, v28, s44                                 // 000000004098: D285001D 0000591C
	v_sub_u32_e32 v31, s71, v29                                // 0000000040A0: 6A3E3A47
	v_add_u32_e32 v30, 1, v28                                  // 0000000040A4: 683C3881
	v_cmp_le_u32_e32 vcc, s44, v31                             // 0000000040A8: 7D963E2C
	v_subrev_u32_e32 v29, s44, v31                             // 0000000040AC: 6C3A3E2C
	s_nop 0                                                    // 0000000040B0: BF800000
	v_cndmask_b32_e32 v28, v28, v30, vcc                       // 0000000040B4: 00383D1C
	v_cndmask_b32_e32 v31, v31, v29, vcc                       // 0000000040B8: 003E3B1F
	v_add_u32_e32 v29, 1, v28                                  // 0000000040BC: 683A3881
	v_cmp_le_u32_e32 vcc, s44, v31                             // 0000000040C0: 7D963E2C
	s_nop 1                                                    // 0000000040C4: BF800001
	v_cndmask_b32_e32 v31, v28, v29, vcc                       // 0000000040C8: 003E3B1C
	s_nop 3                                                    // 0000000040CC: BF800003
	v_readfirstlane_b32 s45, v31                               // 0000000040D0: 7E5A051F
	s_nop 3                                                    // 0000000040D4: BF800003
	s_waitcnt lgkmcnt(0)                                       // 0000000040D8: BF8CC07F
	s_mul_i32 s61, s2, 0x180                                   // 0000000040DC: 923DFF02 00000180
	s_sub_i32 s87, s87, s86                                    // 0000000040E4: 81D75657
	s_mov_b32 s86, s94                                         // 0000000040E8: BED6005E
	s_sub_i32 s85, s85, s84                                    // 0000000040EC: 81D55455
	s_mov_b32 s84, s90                                         // 0000000040F0: BED4005A
	s_cmp_gt_i32 s85, 0                                        // 0000000040F4: BF028055
	s_cbranch_scc0 label_20DA                                  // 0000000040F8: BF842007
	s_mov_b32 s59, 0                                           // 0000000040FC: BEBB0080
	s_mov_b32 s58, s85                                         // 000000004100: BEBA0055
	s_cmp_ge_i32 s61, s87                                      // 000000004104: BF03573D
	s_cbranch_scc1 label_20DA                                  // 000000004108: BF852003
	s_mul_i32 s61, s45, s79                                    // 00000000410C: 923D4F2D
	s_mov_b32 s54, s61                                         // 000000004110: BEB6003D
	s_add_u32 s12, s54, s12                                    // 000000004114: 800C0C36
	s_addc_u32 s13, 0, s13                                     // 000000004118: 820D0D80
	s_mul_i32 s60, s86, s6                                     // 00000000411C: 923C0656
	s_mul_hi_u32 s61, s86, s6                                  // 000000004120: 963D0656
	s_and_b32 s61, s61, 0xffff                                 // 000000004124: 863DFF3D 0000FFFF
	s_add_u32 s12, s12, s60                                    // 00000000412C: 800C3C0C
	s_addc_u32 s13, s13, s61                                   // 000000004130: 820D3D0D
	s_mul_i32 s61, s45, s80                                    // 000000004134: 923D502D
	s_mov_b32 s54, s61                                         // 000000004138: BEB6003D
	s_add_u32 s16, s54, s16                                    // 00000000413C: 80101036
	s_addc_u32 s17, 0, s17                                     // 000000004140: 82111180
	s_mul_i32 s60, s86, s7                                     // 000000004144: 923C0756
	s_mul_hi_u32 s61, s86, s7                                  // 000000004148: 963D0756
	s_and_b32 s61, s61, 0xffff                                 // 00000000414C: 863DFF3D 0000FFFF
	s_add_u32 s16, s16, s60                                    // 000000004154: 80103C10
	s_addc_u32 s17, s17, s61                                   // 000000004158: 82113D11
	s_mul_i32 s61, s3, s78                                     // 00000000415C: 923D4E03
	s_mov_b32 s55, s61                                         // 000000004160: BEB7003D
	s_add_u32 s8, s55, s8                                      // 000000004164: 80080837
	s_addc_u32 s9, 0, s9                                       // 000000004168: 82090980
	s_mul_i32 s60, s84, s5                                     // 00000000416C: 923C0554
	s_mul_hi_u32 s61, s84, s5                                  // 000000004170: 963D0554
	s_and_b32 s61, s61, 0xffff                                 // 000000004174: 863DFF3D 0000FFFF
	s_add_u32 s8, s8, s60                                      // 00000000417C: 80083C08
	s_addc_u32 s9, s9, s61                                     // 000000004180: 82093D09
	s_mul_i32 s61, s3, s81                                     // 000000004184: 923D5103
	s_mov_b32 s56, s61                                         // 000000004188: BEB8003D
	s_add_u32 s20, s56, s20                                    // 00000000418C: 80141438
	s_addc_u32 s21, 0, s21                                     // 000000004190: 82151580
	s_mul_i32 s60, s84, s51                                    // 000000004194: 923C3354
	s_mul_hi_u32 s61, s84, s51                                 // 000000004198: 963D3354
	s_and_b32 s61, s61, 0xffff                                 // 00000000419C: 863DFF3D 0000FFFF
	s_add_u32 s20, s20, s60                                    // 0000000041A4: 80143C14
	s_addc_u32 s21, s21, s61                                   // 0000000041A8: 82153D15
	s_mul_i32 s62, 4, s84                                      // 0000000041AC: 923E5484
	s_mul_i32 s61, s3, s49                                     // 0000000041B0: 923D3103
	s_add_u32 s65, s61, s62                                    // 0000000041B4: 80413E3D
	s_mov_b32 s26, s85                                         // 0000000041B8: BE9A0055
	s_mov_b32 s30, s85                                         // 0000000041BC: BE9E0055
	s_add_u32 s24, s65, s24                                    // 0000000041C0: 80181841
	s_addc_u32 s25, 0, s25                                     // 0000000041C4: 82191980
	s_add_u32 s28, s65, s28                                    // 0000000041C8: 801C1C41
	s_addc_u32 s29, 0, s29                                     // 0000000041CC: 821D1D80
	s_mul_i32 s61, s3, s82                                     // 0000000041D0: 923D5203
	s_mul_i32 s62, s86, s52                                    // 0000000041D4: 923E3456
	s_add_u32 s60, s61, s62                                    // 0000000041D8: 803C3E3D
	s_mul_hi_u32 s61, s86, s52                                 // 0000000041DC: 963D3456
	s_and_b32 s61, s61, 0xffff                                 // 0000000041E0: 863DFF3D 0000FFFF
	s_add_u32 s36, s60, s36                                    // 0000000041E8: 8024243C
	s_addc_u32 s37, s61, s37                                   // 0000000041EC: 8225253D
	s_mul_i32 s60, s87, s52                                    // 0000000041F0: 923C3457
	s_lshr_b32 s60, s60, 2                                     // 0000000041F4: 8F3C823C
	s_mov_b32 s38, s60                                         // 0000000041F8: BEA6003C
	s_mul_i32 s61, s3, s83                                     // 0000000041FC: 923D5303
	s_mul_i32 s62, s86, s53                                    // 000000004200: 923E3556
	s_add_u32 s60, s61, s62                                    // 000000004204: 803C3E3D
	s_mul_hi_u32 s61, s86, s53                                 // 000000004208: 963D3556
	s_and_b32 s61, s61, 0xffff                                 // 00000000420C: 863DFF3D 0000FFFF
	s_add_u32 s40, s60, s40                                    // 000000004214: 8028283C
	s_addc_u32 s41, s61, s41                                   // 000000004218: 8229293D
	s_mul_i32 s60, s87, s53                                    // 00000000421C: 923C3557
	s_lshr_b32 s60, s60, 2                                     // 000000004220: 8F3C823C
	s_mov_b32 s42, s60                                         // 000000004224: BEAA003C
	s_mul_i32 s60, s50, s65                                    // 000000004228: 923C4132
	s_mul_hi_u32 s62, s50, s65                                 // 00000000422C: 963E4132
	s_and_b32 s62, s62, 0xffff                                 // 000000004230: 863EFF3E 0000FFFF
	s_add_u32 s32, s60, s32                                    // 000000004238: 8020203C
	s_addc_u32 s33, s62, s33                                   // 00000000423C: 8221213E
	s_mul_i32 s60, s50, s85                                    // 000000004240: 923C5532
	s_lshl_b32 s60, s60, 2                                     // 000000004244: 8E3C823C
	s_mov_b32 s34, s60                                         // 000000004248: BEA2003C
	s_mov_b32 s90, s8                                          // 00000000424C: BEDA0008
	s_mov_b32 s94, s12                                         // 000000004250: BEDE000C
	s_mov_b32 s96, s16                                         // 000000004254: BEE00010
	s_mov_b32 s98, s20                                         // 000000004258: BEE20014
	s_mov_b32 s91, s9                                          // 00000000425C: BEDB0009
	s_mov_b32 s95, s13                                         // 000000004260: BEDF000D
	s_mov_b32 s97, s17                                         // 000000004264: BEE10011
	s_mov_b32 s99, s21                                         // 000000004268: BEE30015
	s_add_u32 s71, 0xbf, s87                                   // 00000000426C: 804757FF 000000BF
	s_mov_b32 s74, 0xc0                                        // 000000004274: BECA00FF 000000C0
	v_cvt_f32_u32_e32 v28, s74                                 // 00000000427C: 7E380C4A
	s_sub_i32 s60, 0, s74                                      // 000000004280: 81BC4A80
	v_rcp_iflag_f32_e32 v28, v28                               // 000000004284: 7E38471C
	s_nop 0                                                    // 000000004288: BF800000
	v_mul_f32_e32 v28, 0x4f7ffffe, v28                         // 00000000428C: 0A3838FF 4F7FFFFE
	v_cvt_u32_f32_e32 v28, v28                                 // 000000004294: 7E380F1C
	v_mul_lo_u32 v29, s60, v28                                 // 000000004298: D285001D 0002383C
	v_mul_hi_u32 v29, v28, v29                                 // 0000000042A0: D286001D 00023B1C
	v_add_u32_e32 v28, v28, v29                                // 0000000042A8: 68383B1C
	v_mul_hi_u32 v28, s71, v28                                 // 0000000042AC: D286001C 00023847
	v_mul_lo_u32 v29, v28, s74                                 // 0000000042B4: D285001D 0000951C
	v_sub_u32_e32 v31, s71, v29                                // 0000000042BC: 6A3E3A47
	v_add_u32_e32 v30, 1, v28                                  // 0000000042C0: 683C3881
	v_cmp_le_u32_e32 vcc, s74, v31                             // 0000000042C4: 7D963E4A
	v_subrev_u32_e32 v29, s74, v31                             // 0000000042C8: 6C3A3E4A
	s_nop 0                                                    // 0000000042CC: BF800000
	v_cndmask_b32_e32 v28, v28, v30, vcc                       // 0000000042D0: 00383D1C
	v_cndmask_b32_e32 v31, v31, v29, vcc                       // 0000000042D4: 003E3B1F
	v_add_u32_e32 v29, 1, v28                                  // 0000000042D8: 683A3881
	v_cmp_le_u32_e32 vcc, s74, v31                             // 0000000042DC: 7D963E4A
	s_nop 1                                                    // 0000000042E0: BF800001
	v_cndmask_b32_e32 v31, v28, v29, vcc                       // 0000000042E4: 003E3B1C
	s_nop 3                                                    // 0000000042E8: BF800003
	v_readfirstlane_b32 s77, v31                               // 0000000042EC: 7E9A051F
	s_nop 3                                                    // 0000000042F0: BF800003
	v_mov_b32_e32 v28, s47                                     // 0000000042F4: 7E38022F
	v_mul_f32_e32 v28, s48, v28                                // 0000000042F8: 0A383830
	s_mov_b32 s63, 0x5040100                                   // 0000000042FC: BEBF00FF 05040100
	s_mov_b32 s64, 0x7060302                                   // 000000004304: BEC000FF 07060302
	v_readfirstlane_b32 s57, v28                               // 00000000430C: 7E72051C
	v_mov_b32_e32 v30, 0x3020706                               // 000000004310: 7E3C02FF 03020706
	v_mov_b32_e32 v28, s63                                     // 000000004318: 7E38023F
	v_and_b32_e32 v29, 1, v0                                   // 00000000431C: 263A0081
	v_cmp_eq_u32_e32 vcc, 1, v29                               // 000000004320: 7D943A81
	s_mul_i32 s60, s50, 64                                     // 000000004324: 923CC032
	s_mov_b32 s67, s60                                         // 000000004328: BEC3003C
	v_cndmask_b32_e32 v15, v28, v30, vcc                       // 00000000432C: 001E3D1C
	v_mov_b32_e32 v249, 0xffff0000                             // 000000004330: 7FF202FF FFFF0000
	v_mov_b32_e32 v250, 0x7fff0000                             // 000000004338: 7FF402FF 7FFF0000
	v_mov_b32_e32 v251, 0x7fff                                 // 000000004340: 7FF602FF 00007FFF
	s_cmp_lt_u32 s46, 2                                        // 000000004348: BF0A822E
	s_cselect_b32 s24, s24, s28                                // 00000000434C: 85181C18
	s_cselect_b32 s25, s25, s29                                // 000000004350: 85191D19
	s_cselect_b32 s26, s26, s30                                // 000000004354: 851A1E1A
	s_cselect_b32 s27, s27, s31                                // 000000004358: 851B1F1B
	s_lshr_b32 s60, s46, 1                                     // 00000000435C: 8F3C812E
	s_lshl_b32 s60, s60, 8                                     // 000000004360: 8E3C883C
	s_add_u32 s80, 0xc600, s60                                 // 000000004364: 80503CFF 0000C600
	s_add_u32 s81, 0x200, s80                                  // 00000000436C: 805150FF 00000200
	s_mov_b32 s75, 0                                           // 000000004374: BECB0080
	s_mov_b32 s76, 1                                           // 000000004378: BECC0081
	s_lshl_b32 s60, s2, 1                                      // 00000000437C: 8E3C8102
	s_add_u32 s60, 1, s60                                      // 000000004380: 803C3C81
	s_cmp_ge_i32 s60, s77                                      // 000000004384: BF034D3C
	s_cselect_b32 s76, s76, 2                                  // 000000004388: 854C824C

000000000000438c <label_0163>:
	v_lshrrev_b32_e32 v28, 2, v0                               // 00000000438C: 20380082
	v_and_b32_e32 v29, 3, v28                                  // 000000004390: 263A3883
	v_lshrrev_b32_e32 v30, 3, v28                              // 000000004394: 203C3883
	v_lshlrev_b32_e32 v30, 2, v30                              // 000000004398: 243C3C82
	v_add_u32_e32 v28, v30, v29                                // 00000000439C: 68383B1E
	s_lshr_b32 s60, s46, 1                                     // 0000000043A0: 8F3C812E
	s_sub_i32 s60, 1, s60                                      // 0000000043A4: 81BC3C81
	v_mul_i32_i24_e64 v29, s60, 8                              // 0000000043A8: D106001D 0001103C
	v_mov_b32_e32 v30, s50                                     // 0000000043B0: 7E3C0232
	v_sub_u32_e64 v30, v30, 64                                 // 0000000043B4: D135001E 0001811E
	v_lshrrev_b32_e32 v30, 3, v30                              // 0000000043BC: 203C3C83
	v_add_u32_e32 v29, v30, v29                                // 0000000043C0: 683A3B1E
	v_cmp_lt_u32_e64 s[82:83], v28, v29                        // 0000000043C4: D0C90052 00023B1C
	s_mov_b32 m0, s80                                          // 0000000043CC: BEFC0050
	s_mov_b32 s66, 0                                           // 0000000043D0: BEC20080
	v_mov_b32_e32 v151, 0xff800000                             // 0000000043D4: 7F2E02FF FF800000
	s_mov_b32 s74, 0                                           // 0000000043DC: BECA0080
	s_mul_i32 s68, 4, s5                                       // 0000000043E0: 92440584
	s_mul_i32 s100, 4, s51                                     // 0000000043E4: 92643384
	s_mov_b32 s69, 16                                          // 0000000043E8: BEC50090
	s_mul_i32 s89, 0xc0, s2                                    // 0000000043EC: 925902FF 000000C0
	s_sub_i32 s60, s87, s85                                    // 0000000043F4: 81BC5557
	s_sub_i32 s71, s89, s60                                    // 0000000043F8: 81C73C59
	s_cmp_ge_i32 s71, 0                                        // 0000000043FC: BF038047
	s_cselect_b32 s59, s71, 0                                  // 000000004400: 853B8047
	s_add_i32 s60, s71, 0xc0                                   // 000000004404: 813CFF47 000000C0
	s_cmp_le_i32 s60, 0                                        // 00000000440C: BF05803C
	s_cbranch_scc0 label_0187                                  // 000000004410: BF840002
	s_mov_b32 s88, 0                                           // 000000004414: BED80080
	s_branch label_0193                                        // 000000004418: BF82000C

000000000000441c <label_0187>:
	s_mov_b32 s88, 1                                           // 00000000441C: BED80081
	s_sub_i32 s60, s59, s71                                    // 000000004420: 81BC473B
	v_lshrrev_b32_e32 v28, 4, v0                               // 000000004424: 20380084
	v_mul_i32_i24_e32 v28, 4, v28                              // 000000004428: 0C383884
	v_add_i32 v28, v28, s60                                    // 00000000442C: D29C001C 0000791C
	v_and_b32_e32 v29, 15, v0                                  // 000000004434: 263A008F
	v_mul_i32_i24_e64 v30, s46, 16                             // 000000004438: D106001E 0001202E
	v_add_u32_e32 v29, v29, v30                                // 000000004440: 683A3D1D
	v_sub_i32 v25, v29, v28                                    // 000000004444: D29D0019 0002391D

000000000000444c <label_0193>:
	s_mul_i32 s54, s6, s89                                     // 00000000444C: 92365906
	s_sub_i32 s61, s87, s89                                    // 000000004450: 81BD5957
	s_mul_i32 s62, s6, s61                                     // 000000004454: 923E3D06
	s_lshr_b32 s62, s62, 2                                     // 000000004458: 8F3E823E
	s_mov_b32 s14, s62                                         // 00000000445C: BE8E003E
	s_add_u32 s12, s54, s94                                    // 000000004460: 800C5E36
	s_addc_u32 s13, 0, s95                                     // 000000004464: 820D5F80
	s_mul_i32 s54, s7, s89                                     // 000000004468: 92365907
	s_mul_i32 s62, s7, s61                                     // 00000000446C: 923E3D07
	s_lshr_b32 s62, s62, 2                                     // 000000004470: 8F3E823E
	s_mov_b32 s18, s62                                         // 000000004474: BE92003E
	s_add_u32 s16, s54, s96                                    // 000000004478: 80106036
	s_addc_u32 s17, 0, s97                                     // 00000000447C: 82116180
	s_mov_b32 s71, s6                                          // 000000004480: BEC70006
	v_lshrrev_b32_e32 v28, 4, v0                               // 000000004484: 20380084
	v_and_b32_e32 v29, 1, v28                                  // 000000004488: 263A3881
	v_lshlrev_b32_e32 v29, 1, v29                              // 00000000448C: 243A3A81
	v_mul_i32_i24_e32 v29, s71, v29                            // 000000004490: 0C3A3A47
	v_and_b32_e32 v30, 2, v28                                  // 000000004494: 263C3882
	v_lshlrev_b32_e32 v30, 5, v30                              // 000000004498: 243C3C85
	v_add_u32_e32 v29, v30, v29                                // 00000000449C: 683A3B1E
	v_and_b32_e32 v28, 15, v0                                  // 0000000044A0: 2638008F
	v_lshlrev_b32_e32 v28, 2, v28                              // 0000000044A4: 24383882
	v_add_u32_e32 v1, v28, v29                                 // 0000000044A8: 68023B1C
	s_and_b32 s60, 1, s46                                      // 0000000044AC: 863C2E81
	s_mul_i32 s60, s60, s71                                    // 0000000044B0: 923C473C
	s_mul_i32 s60, s60, 8                                      // 0000000044B4: 923C883C
	s_lshr_b32 s61, s46, 1                                     // 0000000044B8: 8F3D812E
	s_mul_i32 s61, s61, 0x80                                   // 0000000044BC: 923DFF3D 00000080
	s_add_u32 s60, s60, s61                                    // 0000000044C4: 803C3D3C
	v_add_u32_e32 v1, s60, v1                                  // 0000000044C8: 6802023C
	v_add_u32_e32 v2, s71, v1                                  // 0000000044CC: 68040247
	s_mul_i32 s60, 4, s71                                      // 0000000044D0: 923C4784
	v_add_u32_e32 v3, s60, v1                                  // 0000000044D4: 6806023C
	v_add_u32_e32 v4, s60, v2                                  // 0000000044D8: 6808043C
	s_mov_b32 s71, s7                                          // 0000000044DC: BEC70007
	v_lshrrev_b32_e32 v28, 4, v0                               // 0000000044E0: 20380084
	v_and_b32_e32 v29, 1, v28                                  // 0000000044E4: 263A3881
	v_lshlrev_b32_e32 v29, 1, v29                              // 0000000044E8: 243A3A81
	v_mul_i32_i24_e32 v29, s71, v29                            // 0000000044EC: 0C3A3A47
	v_and_b32_e32 v30, 2, v28                                  // 0000000044F0: 263C3882
	v_lshlrev_b32_e32 v30, 5, v30                              // 0000000044F4: 243C3C85
	v_add_u32_e32 v29, v30, v29                                // 0000000044F8: 683A3B1E
	v_and_b32_e32 v28, 15, v0                                  // 0000000044FC: 2638008F
	v_lshlrev_b32_e32 v28, 2, v28                              // 000000004500: 24383882
	v_add_u32_e32 v252, v28, v29                               // 000000004504: 69F83B1C
	s_and_b32 s60, 1, s46                                      // 000000004508: 863C2E81
	s_mul_i32 s60, s60, s71                                    // 00000000450C: 923C473C
	s_mul_i32 s60, s60, 8                                      // 000000004510: 923C883C
	s_lshr_b32 s61, s46, 1                                     // 000000004514: 8F3D812E
	s_mul_i32 s61, s61, 0x80                                   // 000000004518: 923DFF3D 00000080
	s_add_u32 s60, s60, s61                                    // 000000004520: 803C3D3C
	v_add_u32_e32 v252, s60, v252                              // 000000004524: 69F9F83C
	v_add_u32_e32 v253, s71, v252                              // 000000004528: 69FBF847
	s_mul_i32 s60, 4, s71                                      // 00000000452C: 923C4784
	v_add_u32_e32 v254, s60, v252                              // 000000004530: 69FDF83C
	v_add_u32_e32 v255, s60, v253                              // 000000004534: 69FFFA3C
	v_lshrrev_b32_e32 v1, 2, v1                                // 000000004538: 20020282
	v_lshrrev_b32_e32 v2, 2, v2                                // 00000000453C: 20040482
	v_lshrrev_b32_e32 v3, 2, v3                                // 000000004540: 20060682
	v_lshrrev_b32_e32 v4, 2, v4                                // 000000004544: 20080882
	v_lshrrev_b32_e32 v252, 2, v252                            // 000000004548: 21F9F882
	v_lshrrev_b32_e32 v253, 2, v253                            // 00000000454C: 21FBFA82
	v_lshrrev_b32_e32 v254, 2, v254                            // 000000004550: 21FDFC82
	v_lshrrev_b32_e32 v255, 2, v255                            // 000000004554: 21FFFE82
	s_mov_b32 s70, s52                                         // 000000004558: BEC60034
	v_lshrrev_b32_e32 v28, 4, v0                               // 00000000455C: 20380084
	v_mul_i32_i24_e32 v5, s70, v28                             // 000000004560: 0C0A3846
	v_lshrrev_b32_e32 v5, 2, v5                                // 000000004564: 200A0A82
	v_and_b32_e32 v28, 15, v0                                  // 000000004568: 2638008F
	v_lshlrev_b32_e32 v29, 2, v28                              // 00000000456C: 243A3882
	v_add_u32_e32 v5, v29, v5                                  // 000000004570: 680A0B1D
	s_mul_i32 s60, 16, s70                                     // 000000004574: 923C4690
	s_mul_i32 s60, s46, s60                                    // 000000004578: 923C3C2E
	v_lshlrev_b32_e32 v5, 2, v5                                // 00000000457C: 240A0A82
	v_add_u32_e32 v5, s60, v5                                  // 000000004580: 680A0A3C
	s_mul_i32 s60, s52, s89                                    // 000000004584: 923C5934
	v_add_u32_e32 v5, s60, v5                                  // 000000004588: 680A0A3C
	v_lshrrev_b32_e32 v5, 2, v5                                // 00000000458C: 200A0A82
	s_mov_b32 s70, s53                                         // 000000004590: BEC60035
	v_lshrrev_b32_e32 v28, 4, v0                               // 000000004594: 20380084
	v_mul_i32_i24_e32 v6, s70, v28                             // 000000004598: 0C0C3846
	v_lshrrev_b32_e32 v6, 2, v6                                // 00000000459C: 200C0C82
	v_and_b32_e32 v28, 15, v0                                  // 0000000045A0: 2638008F
	v_lshlrev_b32_e32 v29, 2, v28                              // 0000000045A4: 243A3882
	v_add_u32_e32 v6, v29, v6                                  // 0000000045A8: 680C0D1D
	s_mul_i32 s60, 16, s70                                     // 0000000045AC: 923C4690
	s_mul_i32 s60, s46, s60                                    // 0000000045B0: 923C3C2E
	v_lshlrev_b32_e32 v6, 2, v6                                // 0000000045B4: 240C0C82
	v_add_u32_e32 v6, s60, v6                                  // 0000000045B8: 680C0C3C
	s_mul_i32 s60, s53, s89                                    // 0000000045BC: 923C5935
	v_add_u32_e32 v6, s60, v6                                  // 0000000045C0: 680C0C3C
	v_lshrrev_b32_e32 v6, 2, v6                                // 0000000045C4: 200C0C82
	s_cmp_ge_i32 s59, s85                                      // 0000000045C8: BF03553B
	s_cselect_b32 s59, s85, s59                                // 0000000045CC: 853B3B55
	s_add_u32 s73, 16, s59                                     // 0000000045D0: 80493B90
	s_mul_i32 s55, s5, s59                                     // 0000000045D4: 92373B05
	s_sub_i32 s61, s85, s59                                    // 0000000045D8: 81BD3B55
	s_mul_i32 s62, s5, s61                                     // 0000000045DC: 923E3D05
	s_lshr_b32 s62, s62, 2                                     // 0000000045E0: 8F3E823E
	s_mov_b32 s10, s62                                         // 0000000045E4: BE8A003E
	s_add_u32 s8, s55, s90                                     // 0000000045E8: 80085A37
	s_addc_u32 s9, 0, s91                                      // 0000000045EC: 82095B80
	s_mul_i32 s56, s51, s59                                    // 0000000045F0: 92383B33
	s_mul_i32 s62, s51, s61                                    // 0000000045F4: 923E3D33
	s_lshr_b32 s62, s62, 2                                     // 0000000045F8: 8F3E823E
	s_mov_b32 s22, s62                                         // 0000000045FC: BE96003E
	s_add_u32 s20, s56, s98                                    // 000000004600: 80146238
	s_addc_u32 s21, 0, s99                                     // 000000004604: 82156380
	s_mul_i32 s65, s59, 4                                      // 000000004608: 9241843B
	v_and_b32_e32 v9, 15, v0                                   // 00000000460C: 2612008F
	v_lshlrev_b32_e32 v9, 2, v9                                // 000000004610: 24121282
	v_add_u32_e32 v9, s65, v9                                  // 000000004614: 68121241
	v_lshrrev_b32_e32 v9, 2, v9                                // 000000004618: 20121282
	v_lshrrev_b32_e32 v28, 5, v0                               // 00000000461C: 20380085
	v_mul_i32_i24_e64 v29, s50, 2                              // 000000004620: D106001D 00010432
	v_mul_i32_i24_e32 v7, v29, v28                             // 000000004628: 0C0E391D
	v_and_b32_e32 v28, 31, v0                                  // 00000000462C: 2638009F
	v_add_u32_e32 v7, v28, v7                                  // 000000004630: 680E0F1C
	s_mul_i32 s60, 4, s50                                      // 000000004634: 923C3284
	s_mul_i32 s60, s46, s60                                    // 000000004638: 923C3C2E
	v_add_u32_e32 v7, s60, v7                                  // 00000000463C: 680E0E3C
	v_lshlrev_b32_e32 v7, 2, v7                                // 000000004640: 240E0E82
	v_mul_i32_i24_e32 v29, 2, v29                              // 000000004644: 0C3A3A82
	v_add_u32_e32 v8, v29, v7                                  // 000000004648: 68100F1D
	s_mul_i32 s60, s50, s65                                    // 00000000464C: 923C4132
	v_add_u32_e32 v7, s60, v7                                  // 000000004650: 680E0E3C
	v_add_u32_e32 v8, s60, v8                                  // 000000004654: 6810103C
	s_mul_i32 s60, 3, s2                                       // 000000004658: 923C0283
	s_add_u32 s61, s87, 63                                     // 00000000465C: 803DBF57
	s_lshr_b32 s61, s61, 6                                     // 000000004660: 8F3D863D
	s_sub_i32 s72, s61, s60                                    // 000000004664: 81C83C3D
	s_cmp_lt_i32 s72, 3                                        // 000000004668: BF048348
	s_cselect_b32 s72, s72, 3                                  // 00000000466C: 85488348
	s_mul_i32 s60, 0xc0, s2                                    // 000000004670: 923C02FF 000000C0
	s_sub_i32 s84, s87, s60                                    // 000000004678: 81D43C57
	v_and_b32_e32 v28, 31, v0                                  // 00000000467C: 2638009F
	v_lshrrev_b32_e32 v28, 1, v28                              // 000000004680: 20383881
	v_and_b32_e32 v29, 1, v28                                  // 000000004684: 263A3881
	v_lshlrev_b32_e32 v29, 4, v29                              // 000000004688: 243A3A84
	v_and_b32_e32 v30, 2, v28                                  // 00000000468C: 263C3882
	v_lshlrev_b32_e32 v30, 2, v30                              // 000000004690: 243C3C82
	v_add_u32_e32 v29, v30, v29                                // 000000004694: 683A3B1E
	v_and_b32_e32 v30, 12, v28                                 // 000000004698: 263C388C
	v_lshrrev_b32_e32 v30, 1, v30                              // 00000000469C: 203C3C81
	v_add_u32_e32 v29, v30, v29                                // 0000000046A0: 683A3B1E
	v_lshrrev_b32_e32 v28, 5, v0                               // 0000000046A4: 20380085
	v_mul_i32_i24_e32 v30, 0x80, v28                           // 0000000046A8: 0C3C38FF 00000080
	v_add_u32_e32 v29, v30, v29                                // 0000000046B0: 683A3B1E
	v_and_b32_e32 v30, 1, v0                                   // 0000000046B4: 263C0081
	v_add_u32_e32 v11, v30, v29                                // 0000000046B8: 68163B1E
	s_and_b32 s60, 1, s46                                      // 0000000046BC: 863C2E81
	s_mul_i32 s60, s60, 64                                     // 0000000046C0: 923CC03C
	s_lshr_b32 s61, s46, 1                                     // 0000000046C4: 8F3D812E
	s_mul_i32 s61, s61, 0x220                                  // 0000000046C8: 923DFF3D 00000220
	s_add_u32 s60, s60, s61                                    // 0000000046D0: 803C3D3C
	v_add_u32_e32 v11, s60, v11                                // 0000000046D4: 6816163C
	v_lshlrev_b32_e32 v11, 2, v11                              // 0000000046D8: 24161682
	v_lshrrev_b32_e32 v28, 4, v0                               // 0000000046DC: 20380084
	v_and_b32_e32 v29, 1, v28                                  // 0000000046E0: 263A3881
	v_lshlrev_b32_e32 v29, 4, v29                              // 0000000046E4: 243A3A84
	v_and_b32_e32 v30, 2, v28                                  // 0000000046E8: 263C3882
	v_mul_i32_i24_e32 v30, 4, v30                              // 0000000046EC: 0C3C3C84
	v_add_u32_e32 v29, v30, v29                                // 0000000046F0: 683A3B1E
	v_and_b32_e32 v28, 15, v0                                  // 0000000046F4: 2638008F
	v_lshrrev_b32_e32 v30, 2, v28                              // 0000000046F8: 203C3882
	v_lshlrev_b32_e32 v30, 5, v30                              // 0000000046FC: 243C3C85
	v_add_u32_e32 v29, v30, v29                                // 000000004700: 683A3B1E
	v_and_b32_e32 v28, 3, v0                                   // 000000004704: 26380083
	v_and_b32_e32 v30, 1, v28                                  // 000000004708: 263C3881
	v_mul_i32_i24_e32 v30, 0x108, v30                          // 00000000470C: 0C3C3CFF 00000108
	v_add_u32_e32 v29, v30, v29                                // 000000004714: 683A3B1E
	v_and_b32_e32 v30, 2, v28                                  // 000000004718: 263C3882
	v_lshlrev_b32_e32 v30, 1, v30                              // 00000000471C: 243C3C81
	v_add_u32_e32 v10, v30, v29                                // 000000004720: 68143B1E
	v_lshlrev_b32_e32 v10, 2, v10                              // 000000004724: 24141482
	s_mul_i32 s60, s46, 0x1100                                 // 000000004728: 923CFF2E 00001100
	v_add_u32_e32 v22, s60, v10                                // 000000004730: 682C143C
	v_lshrrev_b32_e32 v28, 5, v0                               // 000000004734: 20380085
	v_mul_i32_i24_e32 v13, 0x80, v28                           // 000000004738: 0C1A38FF 00000080
	v_and_b32_e32 v28, 31, v0                                  // 000000004740: 2638009F
	v_and_b32_e32 v29, 7, v28                                  // 000000004744: 263A3887
	v_and_b32_e32 v30, 1, v29                                  // 000000004748: 263C3A81
	v_lshlrev_b32_e32 v30, 2, v30                              // 00000000474C: 243C3C82
	v_add_u32_e32 v13, v30, v13                                // 000000004750: 681A1B1E
	v_and_b32_e32 v30, 2, v29                                  // 000000004754: 263C3A82
	v_lshlrev_b32_e32 v30, 3, v30                              // 000000004758: 243C3C83
	v_add_u32_e32 v13, v30, v13                                // 00000000475C: 681A1B1E
	v_and_b32_e32 v30, 4, v29                                  // 000000004760: 263C3A84
	v_lshlrev_b32_e32 v30, 1, v30                              // 000000004764: 243C3C81
	v_add_u32_e32 v13, v30, v13                                // 000000004768: 681A1B1E
	v_lshrrev_b32_e32 v29, 3, v28                              // 00000000476C: 203A3883
	v_and_b32_e32 v30, 1, v29                                  // 000000004770: 263C3A81
	v_lshlrev_b32_e32 v30, 1, v30                              // 000000004774: 243C3C81
	v_add_u32_e32 v13, v30, v13                                // 000000004778: 681A1B1E
	v_and_b32_e32 v30, 2, v29                                  // 00000000477C: 263C3A82
	v_lshrrev_b32_e32 v30, 1, v30                              // 000000004780: 203C3C81
	v_add_u32_e32 v13, v30, v13                                // 000000004784: 681A1B1E
	s_and_b32 s60, 1, s46                                      // 000000004788: 863C2E81
	s_mul_i32 s60, s60, 64                                     // 00000000478C: 923CC03C
	s_lshr_b32 s61, s46, 1                                     // 000000004790: 8F3D812E
	s_mul_i32 s61, s61, 0x220                                  // 000000004794: 923DFF3D 00000220
	s_add_u32 s60, s60, s61                                    // 00000000479C: 803C3D3C
	v_add_u32_e32 v13, s60, v13                                // 0000000047A0: 681A1A3C
	v_lshlrev_b32_e32 v13, 2, v13                              // 0000000047A4: 241A1A82
	v_and_b32_e32 v28, 15, v0                                  // 0000000047A8: 2638008F
	v_and_b32_e32 v30, 1, v28                                  // 0000000047AC: 263C3881
	v_mul_i32_i24_e32 v12, 0x108, v30                          // 0000000047B0: 0C183CFF 00000108
	v_and_b32_e32 v30, 2, v28                                  // 0000000047B8: 263C3882
	v_lshlrev_b32_e32 v30, 1, v30                              // 0000000047BC: 243C3C81
	v_add_u32_e32 v12, v30, v12                                // 0000000047C0: 6818191E
	v_and_b32_e32 v30, 4, v28                                  // 0000000047C4: 263C3884
	v_lshlrev_b32_e32 v30, 2, v30                              // 0000000047C8: 243C3C82
	v_add_u32_e32 v12, v30, v12                                // 0000000047CC: 6818191E
	v_and_b32_e32 v30, 8, v28                                  // 0000000047D0: 263C3888
	v_add_u32_e32 v12, v30, v12                                // 0000000047D4: 6818191E
	v_lshrrev_b32_e32 v28, 4, v0                               // 0000000047D8: 20380084
	v_and_b32_e32 v30, 1, v28                                  // 0000000047DC: 263C3881
	v_lshlrev_b32_e32 v30, 5, v30                              // 0000000047E0: 243C3C85
	v_add_u32_e32 v12, v30, v12                                // 0000000047E4: 6818191E
	v_and_b32_e32 v29, 2, v28                                  // 0000000047E8: 263A3882
	v_mul_i32_i24_e32 v30, 32, v29                             // 0000000047EC: 0C3C3AA0
	v_mul_i32_i24_e32 v29, 0x220, v29                          // 0000000047F0: 0C3A3AFF 00000220
	v_add_u32_e32 v23, v29, v12                                // 0000000047F8: 682E191D
	v_add_u32_e32 v12, v30, v12                                // 0000000047FC: 6818191E
	v_lshlrev_b32_e32 v12, 2, v12                              // 000000004800: 24181882
	v_lshlrev_b32_e32 v23, 2, v23                              // 000000004804: 242E2E82
	s_and_b32 s60, 1, s46                                      // 000000004808: 863C2E81
	s_mul_i32 s60, s60, 0x200                                  // 00000000480C: 923CFF3C 00000200
	s_lshr_b32 s61, s46, 1                                     // 000000004814: 8F3D812E
	s_mul_i32 s61, s61, 0x880                                  // 000000004818: 923DFF3D 00000880
	s_add_u32 s60, s60, s61                                    // 000000004820: 803C3D3C
	v_add_u32_e32 v23, s60, v23                                // 000000004824: 682E2E3C
	v_lshrrev_b32_e32 v28, 4, v0                               // 000000004828: 20380084
	v_mul_i32_i24_e32 v21, 4, v28                              // 00000000482C: 0C2A3884
	v_and_b32_e32 v29, 3, v0                                   // 000000004830: 263A0083
	v_add_u32_e32 v21, v29, v21                                // 000000004834: 682A2B1D
	v_lshlrev_b32_e32 v21, 2, v21                              // 000000004838: 242A2A82
	v_lshrrev_b32_e32 v28, 4, v0                               // 00000000483C: 20380084
	v_and_b32_e32 v29, 1, v28                                  // 000000004840: 263A3881
	v_mul_i32_i24_e32 v19, 0x100, v29                          // 000000004844: 0C263AFF 00000100
	v_and_b32_e32 v29, 2, v28                                  // 00000000484C: 263A3882
	v_mul_i32_i24_e32 v29, 64, v29                             // 000000004850: 0C3A3AC0
	v_add_u32_e32 v19, v29, v19                                // 000000004854: 6826271D
	v_and_b32_e32 v28, 15, v0                                  // 000000004858: 2638008F
	v_mul_i32_i24_e32 v29, 2, v28                              // 00000000485C: 0C3A3882
	v_add_u32_e32 v19, v29, v19                                // 000000004860: 6826271D
	s_mul_i32 s60, s46, 32                                     // 000000004864: 923CA02E
	v_add_u32_e32 v19, s60, v19                                // 000000004868: 6826263C
	v_lshlrev_b32_e32 v19, 2, v19                              // 00000000486C: 24262682
	v_lshlrev_b32_e32 v20, 1, v0                               // 000000004870: 24280081
	s_mul_i32 s60, s46, 0x200                                  // 000000004874: 923CFF2E 00000200
	v_add_u32_e32 v20, s60, v20                                // 00000000487C: 6828283C
	v_lshlrev_b32_e32 v20, 2, v20                              // 000000004880: 24282882
	v_lshrrev_b32_e32 v28, 5, v0                               // 000000004884: 20380085
	v_mul_i32_i24_e32 v17, 64, v28                             // 000000004888: 0C2238C0
	v_and_b32_e32 v28, 31, v0                                  // 00000000488C: 2638009F
	v_and_b32_e32 v28, 3, v28                                  // 000000004890: 26383883
	v_and_b32_e32 v29, 1, v28                                  // 000000004894: 263A3881
	v_mul_i32_i24_e32 v29, 4, v29                              // 000000004898: 0C3A3A84
	v_add_u32_e32 v17, v29, v17                                // 00000000489C: 6822231D
	v_and_b32_e32 v29, 2, v28                                  // 0000000048A0: 263A3882
	v_mul_i32_i24_e32 v29, 0x44, v29                           // 0000000048A4: 0C3A3AFF 00000044
	v_add_u32_e32 v17, v29, v17                                // 0000000048AC: 6822231D
	v_and_b32_e32 v28, 31, v0                                  // 0000000048B0: 2638009F
	v_lshrrev_b32_e32 v28, 2, v28                              // 0000000048B4: 20383882
	v_lshrrev_b32_e32 v30, 2, v28                              // 0000000048B8: 203C3882
	v_mul_i32_i24_e32 v29, 16, v30                             // 0000000048BC: 0C3A3C90
	v_add_u32_e32 v17, v29, v17                                // 0000000048C0: 6822231D
	v_and_b32_e32 v29, 2, v28                                  // 0000000048C4: 263A3882
	v_lshlrev_b32_e32 v29, 4, v29                              // 0000000048C8: 243A3A84
	v_add_u32_e32 v17, v29, v17                                // 0000000048CC: 6822231D
	v_and_b32_e32 v29, 1, v28                                  // 0000000048D0: 263A3881
	v_xor_b32_e32 v29, v30, v29                                // 0000000048D4: 2A3A3B1E
	v_mul_i32_i24_e32 v29, 8, v29                              // 0000000048D8: 0C3A3A88
	v_add_u32_e32 v17, v29, v17                                // 0000000048DC: 6822231D
	v_lshlrev_b32_e32 v17, 2, v17                              // 0000000048E0: 24222282
	v_lshrrev_b32_e32 v28, 5, v0                               // 0000000048E4: 20380085
	v_mul_i32_i24_e32 v18, 32, v28                             // 0000000048E8: 0C2438A0
	v_and_b32_e32 v28, 31, v0                                  // 0000000048EC: 2638009F
	v_and_b32_e32 v28, 3, v28                                  // 0000000048F0: 26383883
	v_and_b32_e32 v29, 1, v28                                  // 0000000048F4: 263A3881
	v_mul_i32_i24_e32 v29, 4, v29                              // 0000000048F8: 0C3A3A84
	v_add_u32_e32 v18, v29, v18                                // 0000000048FC: 6824251D
	v_and_b32_e32 v29, 2, v28                                  // 000000004900: 263A3882
	v_lshrrev_b32_e32 v29, 1, v29                              // 000000004904: 203A3A81
	v_add_u32_e32 v18, v29, v18                                // 000000004908: 6824251D
	v_and_b32_e32 v28, 31, v0                                  // 00000000490C: 2638009F
	v_lshrrev_b32_e32 v28, 2, v28                              // 000000004910: 20383882
	v_and_b32_e32 v30, 1, v28                                  // 000000004914: 263C3881
	v_mul_i32_i24_e32 v29, 16, v30                             // 000000004918: 0C3A3C90
	v_add_u32_e32 v18, v29, v18                                // 00000000491C: 6824251D
	v_and_b32_e32 v29, 2, v28                                  // 000000004920: 263A3882
	v_add_u32_e32 v18, v29, v18                                // 000000004924: 6824251D
	v_lshrrev_b32_e32 v29, 2, v28                              // 000000004928: 203A3882
	v_xor_b32_e32 v29, v30, v29                                // 00000000492C: 2A3A3B1E
	v_mul_i32_i24_e32 v29, 8, v29                              // 000000004930: 0C3A3A88
	v_add_u32_e32 v18, v29, v18                                // 000000004934: 6824251D
	s_and_b32 s60, 1, s46                                      // 000000004938: 863C2E81
	s_mul_i32 s60, s60, 64                                     // 00000000493C: 923CC03C
	s_lshr_b32 s61, s46, 1                                     // 000000004940: 8F3D812E
	s_mul_i32 s61, s61, 0x120                                  // 000000004944: 923DFF3D 00000120
	s_add_u32 s60, s60, s61                                    // 00000000494C: 803C3D3C
	v_add_u32_e32 v18, s60, v18                                // 000000004950: 6824243C
	v_lshlrev_b32_e32 v18, 2, v18                              // 000000004954: 24242482
	v_mov_b32_e32 v152, 0                                      // 000000004958: 7F300280
	s_mov_b64 exec, s[82:83]                                   // 00000000495C: BEFE0152
	buffer_load_dword v152, v1, s[12:15], 0 idxen              // 000000004960: E0502000 80039801
	s_mov_b32 exec_lo, -1                                      // 000000004968: BEFE00C1
	s_mov_b32 exec_hi, -1                                      // 00000000496C: BEFF00C1
	v_mov_b32_e32 v153, 0                                      // 000000004970: 7F320280
	s_mov_b64 exec, s[82:83]                                   // 000000004974: BEFE0152
	buffer_load_dword v153, v2, s[12:15], 0 idxen              // 000000004978: E0502000 80039902
	s_mov_b32 exec_lo, -1                                      // 000000004980: BEFE00C1
	s_mov_b32 exec_hi, -1                                      // 000000004984: BEFF00C1
	v_mov_b32_e32 v154, 0                                      // 000000004988: 7F340280
	s_mov_b64 exec, s[82:83]                                   // 00000000498C: BEFE0152
	buffer_load_dword v154, v3, s[12:15], 0 idxen              // 000000004990: E0502000 80039A03
	s_mov_b32 exec_lo, -1                                      // 000000004998: BEFE00C1
	s_mov_b32 exec_hi, -1                                      // 00000000499C: BEFF00C1
	v_mov_b32_e32 v155, 0                                      // 0000000049A0: 7F360280
	s_mov_b64 exec, s[82:83]                                   // 0000000049A4: BEFE0152
	buffer_load_dword v155, v4, s[12:15], 0 idxen              // 0000000049A8: E0502000 80039B04
	s_mov_b32 exec_lo, -1                                      // 0000000049B0: BEFE00C1
	s_mov_b32 exec_hi, -1                                      // 0000000049B4: BEFF00C1
	s_mul_i32 s60, 4, s6                                       // 0000000049B8: 923C0684
	s_cmp_lt_i32 0, s72                                        // 0000000049BC: BF044880
	s_cselect_b32 s60, s60, 0                                  // 0000000049C0: 853C803C
	v_add_u32_e32 v1, s60, v1                                  // 0000000049C4: 6802023C
	v_add_u32_e32 v2, s60, v2                                  // 0000000049C8: 6804043C
	v_add_u32_e32 v3, s60, v3                                  // 0000000049CC: 6806063C
	v_add_u32_e32 v4, s60, v4                                  // 0000000049D0: 6808083C
	v_mov_b32_e32 v156, 0                                      // 0000000049D4: 7F380280
	s_mov_b64 exec, s[82:83]                                   // 0000000049D8: BEFE0152
	buffer_load_dword v156, v1, s[12:15], 0 idxen              // 0000000049DC: E0502000 80039C01
	s_mov_b32 exec_lo, -1                                      // 0000000049E4: BEFE00C1
	s_mov_b32 exec_hi, -1                                      // 0000000049E8: BEFF00C1
	v_mov_b32_e32 v157, 0                                      // 0000000049EC: 7F3A0280
	s_mov_b64 exec, s[82:83]                                   // 0000000049F0: BEFE0152
	buffer_load_dword v157, v2, s[12:15], 0 idxen              // 0000000049F4: E0502000 80039D02
	s_mov_b32 exec_lo, -1                                      // 0000000049FC: BEFE00C1
	s_mov_b32 exec_hi, -1                                      // 000000004A00: BEFF00C1
	v_mov_b32_e32 v158, 0                                      // 000000004A04: 7F3C0280
	s_mov_b64 exec, s[82:83]                                   // 000000004A08: BEFE0152
	buffer_load_dword v158, v3, s[12:15], 0 idxen              // 000000004A0C: E0502000 80039E03
	s_mov_b32 exec_lo, -1                                      // 000000004A14: BEFE00C1
	s_mov_b32 exec_hi, -1                                      // 000000004A18: BEFF00C1
	v_mov_b32_e32 v159, 0                                      // 000000004A1C: 7F3E0280
	s_mov_b64 exec, s[82:83]                                   // 000000004A20: BEFE0152
	buffer_load_dword v159, v4, s[12:15], 0 idxen              // 000000004A24: E0502000 80039F04
	s_mov_b32 exec_lo, -1                                      // 000000004A2C: BEFE00C1
	s_mov_b32 exec_hi, -1                                      // 000000004A30: BEFF00C1
	s_mul_i32 s60, 4, s6                                       // 000000004A34: 923C0684
	s_cmp_lt_i32 0, s72                                        // 000000004A38: BF044880
	s_cselect_b32 s60, s60, 0                                  // 000000004A3C: 853C803C
	v_add_u32_e32 v1, s60, v1                                  // 000000004A40: 6802023C
	v_add_u32_e32 v2, s60, v2                                  // 000000004A44: 6804043C
	v_add_u32_e32 v3, s60, v3                                  // 000000004A48: 6806063C
	v_add_u32_e32 v4, s60, v4                                  // 000000004A4C: 6808083C
	v_mov_b32_e32 v160, 0                                      // 000000004A50: 7F400280
	s_mov_b64 exec, s[82:83]                                   // 000000004A54: BEFE0152
	buffer_load_dword v160, v1, s[12:15], 0 idxen              // 000000004A58: E0502000 8003A001
	s_mov_b32 exec_lo, -1                                      // 000000004A60: BEFE00C1
	s_mov_b32 exec_hi, -1                                      // 000000004A64: BEFF00C1
	v_mov_b32_e32 v161, 0                                      // 000000004A68: 7F420280
	s_mov_b64 exec, s[82:83]                                   // 000000004A6C: BEFE0152
	buffer_load_dword v161, v2, s[12:15], 0 idxen              // 000000004A70: E0502000 8003A102
	s_mov_b32 exec_lo, -1                                      // 000000004A78: BEFE00C1
	s_mov_b32 exec_hi, -1                                      // 000000004A7C: BEFF00C1
	v_mov_b32_e32 v162, 0                                      // 000000004A80: 7F440280
	s_mov_b64 exec, s[82:83]                                   // 000000004A84: BEFE0152
	buffer_load_dword v162, v3, s[12:15], 0 idxen              // 000000004A88: E0502000 8003A203
	s_mov_b32 exec_lo, -1                                      // 000000004A90: BEFE00C1
	s_mov_b32 exec_hi, -1                                      // 000000004A94: BEFF00C1
	v_mov_b32_e32 v163, 0                                      // 000000004A98: 7F460280
	s_mov_b64 exec, s[82:83]                                   // 000000004A9C: BEFE0152
	buffer_load_dword v163, v4, s[12:15], 0 idxen              // 000000004AA0: E0502000 8003A304
	s_mov_b32 exec_lo, -1                                      // 000000004AA8: BEFE00C1
	s_mov_b32 exec_hi, -1                                      // 000000004AAC: BEFF00C1
	s_mul_i32 s60, 4, s6                                       // 000000004AB0: 923C0684
	s_cmp_lt_i32 0, s72                                        // 000000004AB4: BF044880
	s_cselect_b32 s60, s60, 0                                  // 000000004AB8: 853C803C
	v_add_u32_e32 v1, s60, v1                                  // 000000004ABC: 6802023C
	v_add_u32_e32 v2, s60, v2                                  // 000000004AC0: 6804043C
	v_add_u32_e32 v3, s60, v3                                  // 000000004AC4: 6806063C
	v_add_u32_e32 v4, s60, v4                                  // 000000004AC8: 6808083C
	v_mov_b32_e32 v164, 0                                      // 000000004ACC: 7F480280
	s_mov_b64 exec, s[82:83]                                   // 000000004AD0: BEFE0152
	buffer_load_dword v164, v1, s[12:15], 0 idxen              // 000000004AD4: E0502000 8003A401
	s_mov_b32 exec_lo, -1                                      // 000000004ADC: BEFE00C1
	s_mov_b32 exec_hi, -1                                      // 000000004AE0: BEFF00C1
	v_mov_b32_e32 v165, 0                                      // 000000004AE4: 7F4A0280
	s_mov_b64 exec, s[82:83]                                   // 000000004AE8: BEFE0152
	buffer_load_dword v165, v2, s[12:15], 0 idxen              // 000000004AEC: E0502000 8003A502
	s_mov_b32 exec_lo, -1                                      // 000000004AF4: BEFE00C1
	s_mov_b32 exec_hi, -1                                      // 000000004AF8: BEFF00C1
	v_mov_b32_e32 v166, 0                                      // 000000004AFC: 7F4C0280
	s_mov_b64 exec, s[82:83]                                   // 000000004B00: BEFE0152
	buffer_load_dword v166, v3, s[12:15], 0 idxen              // 000000004B04: E0502000 8003A603
	s_mov_b32 exec_lo, -1                                      // 000000004B0C: BEFE00C1
	s_mov_b32 exec_hi, -1                                      // 000000004B10: BEFF00C1
	v_mov_b32_e32 v167, 0                                      // 000000004B14: 7F4E0280
	s_mov_b64 exec, s[82:83]                                   // 000000004B18: BEFE0152
	buffer_load_dword v167, v4, s[12:15], 0 idxen              // 000000004B1C: E0502000 8003A704
	s_mov_b32 exec_lo, -1                                      // 000000004B24: BEFE00C1
	s_mov_b32 exec_hi, -1                                      // 000000004B28: BEFF00C1
	s_mul_i32 s60, 4, s6                                       // 000000004B2C: 923C0684
	s_cmp_lt_i32 1, s72                                        // 000000004B30: BF044881
	s_cselect_b32 s60, s60, 0                                  // 000000004B34: 853C803C
	v_add_u32_e32 v1, s60, v1                                  // 000000004B38: 6802023C
	v_add_u32_e32 v2, s60, v2                                  // 000000004B3C: 6804043C
	v_add_u32_e32 v3, s60, v3                                  // 000000004B40: 6806063C
	v_add_u32_e32 v4, s60, v4                                  // 000000004B44: 6808083C
	v_mov_b32_e32 v168, 0                                      // 000000004B48: 7F500280
	s_mov_b64 exec, s[82:83]                                   // 000000004B4C: BEFE0152
	buffer_load_dword v168, v1, s[12:15], 0 idxen              // 000000004B50: E0502000 8003A801
	s_mov_b32 exec_lo, -1                                      // 000000004B58: BEFE00C1
	s_mov_b32 exec_hi, -1                                      // 000000004B5C: BEFF00C1
	v_mov_b32_e32 v169, 0                                      // 000000004B60: 7F520280
	s_mov_b64 exec, s[82:83]                                   // 000000004B64: BEFE0152
	buffer_load_dword v169, v2, s[12:15], 0 idxen              // 000000004B68: E0502000 8003A902
	s_mov_b32 exec_lo, -1                                      // 000000004B70: BEFE00C1
	s_mov_b32 exec_hi, -1                                      // 000000004B74: BEFF00C1
	v_mov_b32_e32 v170, 0                                      // 000000004B78: 7F540280
	s_mov_b64 exec, s[82:83]                                   // 000000004B7C: BEFE0152
	buffer_load_dword v170, v3, s[12:15], 0 idxen              // 000000004B80: E0502000 8003AA03
	s_mov_b32 exec_lo, -1                                      // 000000004B88: BEFE00C1
	s_mov_b32 exec_hi, -1                                      // 000000004B8C: BEFF00C1
	v_mov_b32_e32 v171, 0                                      // 000000004B90: 7F560280
	s_mov_b64 exec, s[82:83]                                   // 000000004B94: BEFE0152
	buffer_load_dword v171, v4, s[12:15], 0 idxen              // 000000004B98: E0502000 8003AB04
	s_mov_b32 exec_lo, -1                                      // 000000004BA0: BEFE00C1
	s_mov_b32 exec_hi, -1                                      // 000000004BA4: BEFF00C1
	s_mul_i32 s60, 4, s6                                       // 000000004BA8: 923C0684
	s_cmp_lt_i32 1, s72                                        // 000000004BAC: BF044881
	s_cselect_b32 s60, s60, 0                                  // 000000004BB0: 853C803C
	v_add_u32_e32 v1, s60, v1                                  // 000000004BB4: 6802023C
	v_add_u32_e32 v2, s60, v2                                  // 000000004BB8: 6804043C
	v_add_u32_e32 v3, s60, v3                                  // 000000004BBC: 6806063C
	v_add_u32_e32 v4, s60, v4                                  // 000000004BC0: 6808083C
	v_mov_b32_e32 v172, 0                                      // 000000004BC4: 7F580280
	s_mov_b64 exec, s[82:83]                                   // 000000004BC8: BEFE0152
	buffer_load_dword v172, v1, s[12:15], 0 idxen              // 000000004BCC: E0502000 8003AC01
	s_mov_b32 exec_lo, -1                                      // 000000004BD4: BEFE00C1
	s_mov_b32 exec_hi, -1                                      // 000000004BD8: BEFF00C1
	v_mov_b32_e32 v173, 0                                      // 000000004BDC: 7F5A0280
	s_mov_b64 exec, s[82:83]                                   // 000000004BE0: BEFE0152
	buffer_load_dword v173, v2, s[12:15], 0 idxen              // 000000004BE4: E0502000 8003AD02
	s_mov_b32 exec_lo, -1                                      // 000000004BEC: BEFE00C1
	s_mov_b32 exec_hi, -1                                      // 000000004BF0: BEFF00C1
	v_mov_b32_e32 v174, 0                                      // 000000004BF4: 7F5C0280
	s_mov_b64 exec, s[82:83]                                   // 000000004BF8: BEFE0152
	buffer_load_dword v174, v3, s[12:15], 0 idxen              // 000000004BFC: E0502000 8003AE03
	s_mov_b32 exec_lo, -1                                      // 000000004C04: BEFE00C1
	s_mov_b32 exec_hi, -1                                      // 000000004C08: BEFF00C1
	v_mov_b32_e32 v175, 0                                      // 000000004C0C: 7F5E0280
	s_mov_b64 exec, s[82:83]                                   // 000000004C10: BEFE0152
	buffer_load_dword v175, v4, s[12:15], 0 idxen              // 000000004C14: E0502000 8003AF04
	s_mov_b32 exec_lo, -1                                      // 000000004C1C: BEFE00C1
	s_mov_b32 exec_hi, -1                                      // 000000004C20: BEFF00C1
	s_mul_i32 s60, 4, s6                                       // 000000004C24: 923C0684
	s_cmp_lt_i32 1, s72                                        // 000000004C28: BF044881
	s_cselect_b32 s60, s60, 0                                  // 000000004C2C: 853C803C
	v_add_u32_e32 v1, s60, v1                                  // 000000004C30: 6802023C
	v_add_u32_e32 v2, s60, v2                                  // 000000004C34: 6804043C
	v_add_u32_e32 v3, s60, v3                                  // 000000004C38: 6806063C
	v_add_u32_e32 v4, s60, v4                                  // 000000004C3C: 6808083C
	v_mov_b32_e32 v176, 0                                      // 000000004C40: 7F600280
	s_mov_b64 exec, s[82:83]                                   // 000000004C44: BEFE0152
	buffer_load_dword v176, v1, s[12:15], 0 idxen              // 000000004C48: E0502000 8003B001
	s_mov_b32 exec_lo, -1                                      // 000000004C50: BEFE00C1
	s_mov_b32 exec_hi, -1                                      // 000000004C54: BEFF00C1
	v_mov_b32_e32 v177, 0                                      // 000000004C58: 7F620280
	s_mov_b64 exec, s[82:83]                                   // 000000004C5C: BEFE0152
	buffer_load_dword v177, v2, s[12:15], 0 idxen              // 000000004C60: E0502000 8003B102
	s_mov_b32 exec_lo, -1                                      // 000000004C68: BEFE00C1
	s_mov_b32 exec_hi, -1                                      // 000000004C6C: BEFF00C1
	v_mov_b32_e32 v178, 0                                      // 000000004C70: 7F640280
	s_mov_b64 exec, s[82:83]                                   // 000000004C74: BEFE0152
	buffer_load_dword v178, v3, s[12:15], 0 idxen              // 000000004C78: E0502000 8003B203
	s_mov_b32 exec_lo, -1                                      // 000000004C80: BEFE00C1
	s_mov_b32 exec_hi, -1                                      // 000000004C84: BEFF00C1
	v_mov_b32_e32 v179, 0                                      // 000000004C88: 7F660280
	s_mov_b64 exec, s[82:83]                                   // 000000004C8C: BEFE0152
	buffer_load_dword v179, v4, s[12:15], 0 idxen              // 000000004C90: E0502000 8003B304
	s_mov_b32 exec_lo, -1                                      // 000000004C98: BEFE00C1
	s_mov_b32 exec_hi, -1                                      // 000000004C9C: BEFF00C1
	s_mul_i32 s60, 4, s6                                       // 000000004CA0: 923C0684
	s_cmp_lt_i32 1, s72                                        // 000000004CA4: BF044881
	s_cselect_b32 s60, s60, 0                                  // 000000004CA8: 853C803C
	v_add_u32_e32 v1, s60, v1                                  // 000000004CAC: 6802023C
	v_add_u32_e32 v2, s60, v2                                  // 000000004CB0: 6804043C
	v_add_u32_e32 v3, s60, v3                                  // 000000004CB4: 6806063C
	v_add_u32_e32 v4, s60, v4                                  // 000000004CB8: 6808083C
	v_mov_b32_e32 v180, 0                                      // 000000004CBC: 7F680280
	s_mov_b64 exec, s[82:83]                                   // 000000004CC0: BEFE0152
	buffer_load_dword v180, v1, s[12:15], 0 idxen              // 000000004CC4: E0502000 8003B401
	s_mov_b32 exec_lo, -1                                      // 000000004CCC: BEFE00C1
	s_mov_b32 exec_hi, -1                                      // 000000004CD0: BEFF00C1
	v_mov_b32_e32 v181, 0                                      // 000000004CD4: 7F6A0280
	s_mov_b64 exec, s[82:83]                                   // 000000004CD8: BEFE0152
	buffer_load_dword v181, v2, s[12:15], 0 idxen              // 000000004CDC: E0502000 8003B502
	s_mov_b32 exec_lo, -1                                      // 000000004CE4: BEFE00C1
	s_mov_b32 exec_hi, -1                                      // 000000004CE8: BEFF00C1
	v_mov_b32_e32 v182, 0                                      // 000000004CEC: 7F6C0280
	s_mov_b64 exec, s[82:83]                                   // 000000004CF0: BEFE0152
	buffer_load_dword v182, v3, s[12:15], 0 idxen              // 000000004CF4: E0502000 8003B603
	s_mov_b32 exec_lo, -1                                      // 000000004CFC: BEFE00C1
	s_mov_b32 exec_hi, -1                                      // 000000004D00: BEFF00C1
	v_mov_b32_e32 v183, 0                                      // 000000004D04: 7F6E0280
	s_mov_b64 exec, s[82:83]                                   // 000000004D08: BEFE0152
	buffer_load_dword v183, v4, s[12:15], 0 idxen              // 000000004D0C: E0502000 8003B704
	s_mov_b32 exec_lo, -1                                      // 000000004D14: BEFE00C1
	s_mov_b32 exec_hi, -1                                      // 000000004D18: BEFF00C1
	s_mul_i32 s60, 4, s6                                       // 000000004D1C: 923C0684
	s_cmp_lt_i32 2, s72                                        // 000000004D20: BF044882
	s_cselect_b32 s60, s60, 0                                  // 000000004D24: 853C803C
	v_add_u32_e32 v1, s60, v1                                  // 000000004D28: 6802023C
	v_add_u32_e32 v2, s60, v2                                  // 000000004D2C: 6804043C
	v_add_u32_e32 v3, s60, v3                                  // 000000004D30: 6806063C
	v_add_u32_e32 v4, s60, v4                                  // 000000004D34: 6808083C
	v_mov_b32_e32 v184, 0                                      // 000000004D38: 7F700280
	s_mov_b64 exec, s[82:83]                                   // 000000004D3C: BEFE0152
	buffer_load_dword v184, v1, s[12:15], 0 idxen              // 000000004D40: E0502000 8003B801
	s_mov_b32 exec_lo, -1                                      // 000000004D48: BEFE00C1
	s_mov_b32 exec_hi, -1                                      // 000000004D4C: BEFF00C1
	v_mov_b32_e32 v185, 0                                      // 000000004D50: 7F720280
	s_mov_b64 exec, s[82:83]                                   // 000000004D54: BEFE0152
	buffer_load_dword v185, v2, s[12:15], 0 idxen              // 000000004D58: E0502000 8003B902
	s_mov_b32 exec_lo, -1                                      // 000000004D60: BEFE00C1
	s_mov_b32 exec_hi, -1                                      // 000000004D64: BEFF00C1
	v_mov_b32_e32 v186, 0                                      // 000000004D68: 7F740280
	s_mov_b64 exec, s[82:83]                                   // 000000004D6C: BEFE0152
	buffer_load_dword v186, v3, s[12:15], 0 idxen              // 000000004D70: E0502000 8003BA03
	s_mov_b32 exec_lo, -1                                      // 000000004D78: BEFE00C1
	s_mov_b32 exec_hi, -1                                      // 000000004D7C: BEFF00C1
	v_mov_b32_e32 v187, 0                                      // 000000004D80: 7F760280
	s_mov_b64 exec, s[82:83]                                   // 000000004D84: BEFE0152
	buffer_load_dword v187, v4, s[12:15], 0 idxen              // 000000004D88: E0502000 8003BB04
	s_mov_b32 exec_lo, -1                                      // 000000004D90: BEFE00C1
	s_mov_b32 exec_hi, -1                                      // 000000004D94: BEFF00C1
	s_mul_i32 s60, 4, s6                                       // 000000004D98: 923C0684
	s_cmp_lt_i32 2, s72                                        // 000000004D9C: BF044882
	s_cselect_b32 s60, s60, 0                                  // 000000004DA0: 853C803C
	v_add_u32_e32 v1, s60, v1                                  // 000000004DA4: 6802023C
	v_add_u32_e32 v2, s60, v2                                  // 000000004DA8: 6804043C
	v_add_u32_e32 v3, s60, v3                                  // 000000004DAC: 6806063C
	v_add_u32_e32 v4, s60, v4                                  // 000000004DB0: 6808083C
	v_mov_b32_e32 v188, 0                                      // 000000004DB4: 7F780280
	s_mov_b64 exec, s[82:83]                                   // 000000004DB8: BEFE0152
	buffer_load_dword v188, v1, s[12:15], 0 idxen              // 000000004DBC: E0502000 8003BC01
	s_mov_b32 exec_lo, -1                                      // 000000004DC4: BEFE00C1
	s_mov_b32 exec_hi, -1                                      // 000000004DC8: BEFF00C1
	v_mov_b32_e32 v189, 0                                      // 000000004DCC: 7F7A0280
	s_mov_b64 exec, s[82:83]                                   // 000000004DD0: BEFE0152
	buffer_load_dword v189, v2, s[12:15], 0 idxen              // 000000004DD4: E0502000 8003BD02
	s_mov_b32 exec_lo, -1                                      // 000000004DDC: BEFE00C1
	s_mov_b32 exec_hi, -1                                      // 000000004DE0: BEFF00C1
	v_mov_b32_e32 v190, 0                                      // 000000004DE4: 7F7C0280
	s_mov_b64 exec, s[82:83]                                   // 000000004DE8: BEFE0152
	buffer_load_dword v190, v3, s[12:15], 0 idxen              // 000000004DEC: E0502000 8003BE03
	s_mov_b32 exec_lo, -1                                      // 000000004DF4: BEFE00C1
	s_mov_b32 exec_hi, -1                                      // 000000004DF8: BEFF00C1
	v_mov_b32_e32 v191, 0                                      // 000000004DFC: 7F7E0280
	s_mov_b64 exec, s[82:83]                                   // 000000004E00: BEFE0152
	buffer_load_dword v191, v4, s[12:15], 0 idxen              // 000000004E04: E0502000 8003BF04
	s_mov_b32 exec_lo, -1                                      // 000000004E0C: BEFE00C1
	s_mov_b32 exec_hi, -1                                      // 000000004E10: BEFF00C1
	s_mul_i32 s60, 4, s6                                       // 000000004E14: 923C0684
	s_cmp_lt_i32 2, s72                                        // 000000004E18: BF044882
	s_cselect_b32 s60, s60, 0                                  // 000000004E1C: 853C803C
	v_add_u32_e32 v1, s60, v1                                  // 000000004E20: 6802023C
	v_add_u32_e32 v2, s60, v2                                  // 000000004E24: 6804043C
	v_add_u32_e32 v3, s60, v3                                  // 000000004E28: 6806063C
	v_add_u32_e32 v4, s60, v4                                  // 000000004E2C: 6808083C
	v_mov_b32_e32 v192, 0                                      // 000000004E30: 7F800280
	s_mov_b64 exec, s[82:83]                                   // 000000004E34: BEFE0152
	buffer_load_dword v192, v1, s[12:15], 0 idxen              // 000000004E38: E0502000 8003C001
	s_mov_b32 exec_lo, -1                                      // 000000004E40: BEFE00C1
	s_mov_b32 exec_hi, -1                                      // 000000004E44: BEFF00C1
	v_mov_b32_e32 v193, 0                                      // 000000004E48: 7F820280
	s_mov_b64 exec, s[82:83]                                   // 000000004E4C: BEFE0152
	buffer_load_dword v193, v2, s[12:15], 0 idxen              // 000000004E50: E0502000 8003C102
	s_mov_b32 exec_lo, -1                                      // 000000004E58: BEFE00C1
	s_mov_b32 exec_hi, -1                                      // 000000004E5C: BEFF00C1
	v_mov_b32_e32 v194, 0                                      // 000000004E60: 7F840280
	s_mov_b64 exec, s[82:83]                                   // 000000004E64: BEFE0152
	buffer_load_dword v194, v3, s[12:15], 0 idxen              // 000000004E68: E0502000 8003C203
	s_mov_b32 exec_lo, -1                                      // 000000004E70: BEFE00C1
	s_mov_b32 exec_hi, -1                                      // 000000004E74: BEFF00C1
	v_mov_b32_e32 v195, 0                                      // 000000004E78: 7F860280
	s_mov_b64 exec, s[82:83]                                   // 000000004E7C: BEFE0152
	buffer_load_dword v195, v4, s[12:15], 0 idxen              // 000000004E80: E0502000 8003C304
	s_mov_b32 exec_lo, -1                                      // 000000004E88: BEFE00C1
	s_mov_b32 exec_hi, -1                                      // 000000004E8C: BEFF00C1
	s_mul_i32 s60, 4, s6                                       // 000000004E90: 923C0684
	s_cmp_lt_i32 2, s72                                        // 000000004E94: BF044882
	s_cselect_b32 s60, s60, 0                                  // 000000004E98: 853C803C
	v_add_u32_e32 v1, s60, v1                                  // 000000004E9C: 6802023C
	v_add_u32_e32 v2, s60, v2                                  // 000000004EA0: 6804043C
	v_add_u32_e32 v3, s60, v3                                  // 000000004EA4: 6806063C
	v_add_u32_e32 v4, s60, v4                                  // 000000004EA8: 6808083C
	v_mov_b32_e32 v196, 0                                      // 000000004EAC: 7F880280
	s_mov_b64 exec, s[82:83]                                   // 000000004EB0: BEFE0152
	buffer_load_dword v196, v1, s[12:15], 0 idxen              // 000000004EB4: E0502000 8003C401
	s_mov_b32 exec_lo, -1                                      // 000000004EBC: BEFE00C1
	s_mov_b32 exec_hi, -1                                      // 000000004EC0: BEFF00C1
	v_mov_b32_e32 v197, 0                                      // 000000004EC4: 7F8A0280
	s_mov_b64 exec, s[82:83]                                   // 000000004EC8: BEFE0152
	buffer_load_dword v197, v2, s[12:15], 0 idxen              // 000000004ECC: E0502000 8003C502
	s_mov_b32 exec_lo, -1                                      // 000000004ED4: BEFE00C1
	s_mov_b32 exec_hi, -1                                      // 000000004ED8: BEFF00C1
	v_mov_b32_e32 v198, 0                                      // 000000004EDC: 7F8C0280
	s_mov_b64 exec, s[82:83]                                   // 000000004EE0: BEFE0152
	buffer_load_dword v198, v3, s[12:15], 0 idxen              // 000000004EE4: E0502000 8003C603
	s_mov_b32 exec_lo, -1                                      // 000000004EEC: BEFE00C1
	s_mov_b32 exec_hi, -1                                      // 000000004EF0: BEFF00C1
	v_mov_b32_e32 v199, 0                                      // 000000004EF4: 7F8E0280
	s_mov_b64 exec, s[82:83]                                   // 000000004EF8: BEFE0152
	buffer_load_dword v199, v4, s[12:15], 0 idxen              // 000000004EFC: E0502000 8003C704
	s_mov_b32 exec_lo, -1                                      // 000000004F04: BEFE00C1
	s_mov_b32 exec_hi, -1                                      // 000000004F08: BEFF00C1
	s_mul_i32 s60, 4, s6                                       // 000000004F0C: 923C0684
	s_cmp_lt_i32 3, s72                                        // 000000004F10: BF044883
	s_cselect_b32 s60, s60, 0                                  // 000000004F14: 853C803C
	v_add_u32_e32 v1, s60, v1                                  // 000000004F18: 6802023C
	v_add_u32_e32 v2, s60, v2                                  // 000000004F1C: 6804043C
	v_add_u32_e32 v3, s60, v3                                  // 000000004F20: 6806063C
	v_add_u32_e32 v4, s60, v4                                  // 000000004F24: 6808083C
	s_waitcnt vmcnt(32) lgkmcnt(0)                             // 000000004F28: BF8C8070
	s_barrier                                                  // 000000004F2C: BF8A0000
	s_cmp_lt_i32 0, s72                                        // 000000004F30: BF044880
	s_cbranch_scc1 label_045E                                  // 000000004F34: BF850010
	v_mov_b32_e32 v152, 0                                      // 000000004F38: 7F300280
	v_mov_b32_e32 v153, 0                                      // 000000004F3C: 7F320280
	v_mov_b32_e32 v154, 0                                      // 000000004F40: 7F340280
	v_mov_b32_e32 v155, 0                                      // 000000004F44: 7F360280
	v_mov_b32_e32 v156, 0                                      // 000000004F48: 7F380280
	v_mov_b32_e32 v157, 0                                      // 000000004F4C: 7F3A0280
	v_mov_b32_e32 v158, 0                                      // 000000004F50: 7F3C0280
	v_mov_b32_e32 v159, 0                                      // 000000004F54: 7F3E0280
	v_mov_b32_e32 v160, 0                                      // 000000004F58: 7F400280
	v_mov_b32_e32 v161, 0                                      // 000000004F5C: 7F420280
	v_mov_b32_e32 v162, 0                                      // 000000004F60: 7F440280
	v_mov_b32_e32 v163, 0                                      // 000000004F64: 7F460280
	v_mov_b32_e32 v164, 0                                      // 000000004F68: 7F480280
	v_mov_b32_e32 v165, 0                                      // 000000004F6C: 7F4A0280
	v_mov_b32_e32 v166, 0                                      // 000000004F70: 7F4C0280
	v_mov_b32_e32 v167, 0                                      // 000000004F74: 7F4E0280

0000000000004f78 <label_045E>:
	v_perm_b32 v200, v153, v152, s63                           // 000000004F78: D1ED00C8 00FF3199
	v_perm_b32 v201, v153, v152, s64                           // 000000004F80: D1ED00C9 01033199
	v_perm_b32 v202, v155, v154, s63                           // 000000004F88: D1ED00CA 00FF359B
	v_perm_b32 v203, v155, v154, s64                           // 000000004F90: D1ED00CB 0103359B
	v_perm_b32 v204, v157, v156, s63                           // 000000004F98: D1ED00CC 00FF399D
	v_perm_b32 v205, v157, v156, s64                           // 000000004FA0: D1ED00CD 0103399D
	v_perm_b32 v206, v159, v158, s63                           // 000000004FA8: D1ED00CE 00FF3D9F
	v_perm_b32 v207, v159, v158, s64                           // 000000004FB0: D1ED00CF 01033D9F
	v_perm_b32 v208, v161, v160, s63                           // 000000004FB8: D1ED00D0 00FF41A1
	v_perm_b32 v209, v161, v160, s64                           // 000000004FC0: D1ED00D1 010341A1
	v_perm_b32 v210, v163, v162, s63                           // 000000004FC8: D1ED00D2 00FF45A3
	v_perm_b32 v211, v163, v162, s64                           // 000000004FD0: D1ED00D3 010345A3
	v_perm_b32 v212, v165, v164, s63                           // 000000004FD8: D1ED00D4 00FF49A5
	v_perm_b32 v213, v165, v164, s64                           // 000000004FE0: D1ED00D5 010349A5
	v_perm_b32 v214, v167, v166, s63                           // 000000004FE8: D1ED00D6 00FF4DA7
	v_perm_b32 v215, v167, v166, s64                           // 000000004FF0: D1ED00D7 01034DA7
	ds_write_b32 v13, v200 offset:17408                        // 000000004FF8: D81A4400 0000C80D
	ds_write_b32 v13, v201 offset:18464                        // 000000005000: D81A4820 0000C90D
	ds_write_b32 v13, v202 offset:17536                        // 000000005008: D81A4480 0000CA0D
	ds_write_b32 v13, v203 offset:18592                        // 000000005010: D81A48A0 0000CB0D
	ds_write_b32 v13, v204 offset:21760                        // 000000005018: D81A5500 0000CC0D
	ds_write_b32 v13, v205 offset:22816                        // 000000005020: D81A5920 0000CD0D
	ds_write_b32 v13, v206 offset:21888                        // 000000005028: D81A5580 0000CE0D
	ds_write_b32 v13, v207 offset:22944                        // 000000005030: D81A59A0 0000CF0D
	ds_write_b32 v13, v208 offset:26112                        // 000000005038: D81A6600 0000D00D
	ds_write_b32 v13, v209 offset:27168                        // 000000005040: D81A6A20 0000D10D
	ds_write_b32 v13, v210 offset:26240                        // 000000005048: D81A6680 0000D20D
	ds_write_b32 v13, v211 offset:27296                        // 000000005050: D81A6AA0 0000D30D
	ds_write_b32 v13, v212 offset:30464                        // 000000005058: D81A7700 0000D40D
	ds_write_b32 v13, v213 offset:31520                        // 000000005060: D81A7B20 0000D50D
	ds_write_b32 v13, v214 offset:30592                        // 000000005068: D81A7780 0000D60D
	ds_write_b32 v13, v215 offset:31648                        // 000000005070: D81A7BA0 0000D70D
	ds_write_b32 v11, v152                                     // 000000005078: D81A0000 0000980B
	ds_write_b32 v11, v153 offset:1056                         // 000000005080: D81A0420 0000990B
	ds_write_b32 v11, v154 offset:128                          // 000000005088: D81A0080 00009A0B
	ds_write_b32 v11, v155 offset:1184                         // 000000005090: D81A04A0 00009B0B
	ds_write_b32 v11, v156 offset:4352                         // 000000005098: D81A1100 00009C0B
	ds_write_b32 v11, v157 offset:5408                         // 0000000050A0: D81A1520 00009D0B
	ds_write_b32 v11, v158 offset:4480                         // 0000000050A8: D81A1180 00009E0B
	ds_write_b32 v11, v159 offset:5536                         // 0000000050B0: D81A15A0 00009F0B
	ds_write_b32 v11, v160 offset:8704                         // 0000000050B8: D81A2200 0000A00B
	ds_write_b32 v11, v161 offset:9760                         // 0000000050C0: D81A2620 0000A10B
	ds_write_b32 v11, v162 offset:8832                         // 0000000050C8: D81A2280 0000A20B
	ds_write_b32 v11, v163 offset:9888                         // 0000000050D0: D81A26A0 0000A30B
	ds_write_b32 v11, v164 offset:13056                        // 0000000050D8: D81A3300 0000A40B
	ds_write_b32 v11, v165 offset:14112                        // 0000000050E0: D81A3720 0000A50B
	ds_write_b32 v11, v166 offset:13184                        // 0000000050E8: D81A3380 0000A60B
	ds_write_b32 v11, v167 offset:14240                        // 0000000050F0: D81A37A0 0000A70B
	v_mov_b32_e32 v152, 0                                      // 0000000050F8: 7F300280
	s_mov_b64 exec, s[82:83]                                   // 0000000050FC: BEFE0152
	buffer_load_dword v152, v252, s[16:19], 0 idxen            // 000000005100: E0502000 800498FC
	s_mov_b32 exec_lo, -1                                      // 000000005108: BEFE00C1
	s_mov_b32 exec_hi, -1                                      // 00000000510C: BEFF00C1
	v_mov_b32_e32 v153, 0                                      // 000000005110: 7F320280
	s_mov_b64 exec, s[82:83]                                   // 000000005114: BEFE0152
	buffer_load_dword v153, v253, s[16:19], 0 idxen            // 000000005118: E0502000 800499FD
	s_mov_b32 exec_lo, -1                                      // 000000005120: BEFE00C1
	s_mov_b32 exec_hi, -1                                      // 000000005124: BEFF00C1
	v_mov_b32_e32 v154, 0                                      // 000000005128: 7F340280
	s_mov_b64 exec, s[82:83]                                   // 00000000512C: BEFE0152
	buffer_load_dword v154, v254, s[16:19], 0 idxen            // 000000005130: E0502000 80049AFE
	s_mov_b32 exec_lo, -1                                      // 000000005138: BEFE00C1
	s_mov_b32 exec_hi, -1                                      // 00000000513C: BEFF00C1
	v_mov_b32_e32 v155, 0                                      // 000000005140: 7F360280
	s_mov_b64 exec, s[82:83]                                   // 000000005144: BEFE0152
	buffer_load_dword v155, v255, s[16:19], 0 idxen            // 000000005148: E0502000 80049BFF
	s_mov_b32 exec_lo, -1                                      // 000000005150: BEFE00C1
	s_mov_b32 exec_hi, -1                                      // 000000005154: BEFF00C1
	s_mul_i32 s60, 4, s7                                       // 000000005158: 923C0784
	s_cmp_lt_i32 0, s72                                        // 00000000515C: BF044880
	s_cselect_b32 s60, s60, 0                                  // 000000005160: 853C803C
	v_add_u32_e32 v252, s60, v252                              // 000000005164: 69F9F83C
	v_add_u32_e32 v253, s60, v253                              // 000000005168: 69FBFA3C
	v_add_u32_e32 v254, s60, v254                              // 00000000516C: 69FDFC3C
	v_add_u32_e32 v255, s60, v255                              // 000000005170: 69FFFE3C
	v_mov_b32_e32 v156, 0                                      // 000000005174: 7F380280
	s_mov_b64 exec, s[82:83]                                   // 000000005178: BEFE0152
	buffer_load_dword v156, v252, s[16:19], 0 idxen            // 00000000517C: E0502000 80049CFC
	s_mov_b32 exec_lo, -1                                      // 000000005184: BEFE00C1
	s_mov_b32 exec_hi, -1                                      // 000000005188: BEFF00C1
	v_mov_b32_e32 v157, 0                                      // 00000000518C: 7F3A0280
	s_mov_b64 exec, s[82:83]                                   // 000000005190: BEFE0152
	buffer_load_dword v157, v253, s[16:19], 0 idxen            // 000000005194: E0502000 80049DFD
	s_mov_b32 exec_lo, -1                                      // 00000000519C: BEFE00C1
	s_mov_b32 exec_hi, -1                                      // 0000000051A0: BEFF00C1
	v_mov_b32_e32 v158, 0                                      // 0000000051A4: 7F3C0280
	s_mov_b64 exec, s[82:83]                                   // 0000000051A8: BEFE0152
	buffer_load_dword v158, v254, s[16:19], 0 idxen            // 0000000051AC: E0502000 80049EFE
	s_mov_b32 exec_lo, -1                                      // 0000000051B4: BEFE00C1
	s_mov_b32 exec_hi, -1                                      // 0000000051B8: BEFF00C1
	v_mov_b32_e32 v159, 0                                      // 0000000051BC: 7F3E0280
	s_mov_b64 exec, s[82:83]                                   // 0000000051C0: BEFE0152
	buffer_load_dword v159, v255, s[16:19], 0 idxen            // 0000000051C4: E0502000 80049FFF
	s_mov_b32 exec_lo, -1                                      // 0000000051CC: BEFE00C1
	s_mov_b32 exec_hi, -1                                      // 0000000051D0: BEFF00C1
	s_mul_i32 s60, 4, s7                                       // 0000000051D4: 923C0784
	s_cmp_lt_i32 0, s72                                        // 0000000051D8: BF044880
	s_cselect_b32 s60, s60, 0                                  // 0000000051DC: 853C803C
	v_add_u32_e32 v252, s60, v252                              // 0000000051E0: 69F9F83C
	v_add_u32_e32 v253, s60, v253                              // 0000000051E4: 69FBFA3C
	v_add_u32_e32 v254, s60, v254                              // 0000000051E8: 69FDFC3C
	v_add_u32_e32 v255, s60, v255                              // 0000000051EC: 69FFFE3C
	v_mov_b32_e32 v160, 0                                      // 0000000051F0: 7F400280
	s_mov_b64 exec, s[82:83]                                   // 0000000051F4: BEFE0152
	buffer_load_dword v160, v252, s[16:19], 0 idxen            // 0000000051F8: E0502000 8004A0FC
	s_mov_b32 exec_lo, -1                                      // 000000005200: BEFE00C1
	s_mov_b32 exec_hi, -1                                      // 000000005204: BEFF00C1
	v_mov_b32_e32 v161, 0                                      // 000000005208: 7F420280
	s_mov_b64 exec, s[82:83]                                   // 00000000520C: BEFE0152
	buffer_load_dword v161, v253, s[16:19], 0 idxen            // 000000005210: E0502000 8004A1FD
	s_mov_b32 exec_lo, -1                                      // 000000005218: BEFE00C1
	s_mov_b32 exec_hi, -1                                      // 00000000521C: BEFF00C1
	v_mov_b32_e32 v162, 0                                      // 000000005220: 7F440280
	s_mov_b64 exec, s[82:83]                                   // 000000005224: BEFE0152
	buffer_load_dword v162, v254, s[16:19], 0 idxen            // 000000005228: E0502000 8004A2FE
	s_mov_b32 exec_lo, -1                                      // 000000005230: BEFE00C1
	s_mov_b32 exec_hi, -1                                      // 000000005234: BEFF00C1
	v_mov_b32_e32 v163, 0                                      // 000000005238: 7F460280
	s_mov_b64 exec, s[82:83]                                   // 00000000523C: BEFE0152
	buffer_load_dword v163, v255, s[16:19], 0 idxen            // 000000005240: E0502000 8004A3FF
	s_mov_b32 exec_lo, -1                                      // 000000005248: BEFE00C1
	s_mov_b32 exec_hi, -1                                      // 00000000524C: BEFF00C1
	s_mul_i32 s60, 4, s7                                       // 000000005250: 923C0784
	s_cmp_lt_i32 0, s72                                        // 000000005254: BF044880
	s_cselect_b32 s60, s60, 0                                  // 000000005258: 853C803C
	v_add_u32_e32 v252, s60, v252                              // 00000000525C: 69F9F83C
	v_add_u32_e32 v253, s60, v253                              // 000000005260: 69FBFA3C
	v_add_u32_e32 v254, s60, v254                              // 000000005264: 69FDFC3C
	v_add_u32_e32 v255, s60, v255                              // 000000005268: 69FFFE3C
	v_mov_b32_e32 v164, 0                                      // 00000000526C: 7F480280
	s_mov_b64 exec, s[82:83]                                   // 000000005270: BEFE0152
	buffer_load_dword v164, v252, s[16:19], 0 idxen            // 000000005274: E0502000 8004A4FC
	s_mov_b32 exec_lo, -1                                      // 00000000527C: BEFE00C1
	s_mov_b32 exec_hi, -1                                      // 000000005280: BEFF00C1
	v_mov_b32_e32 v165, 0                                      // 000000005284: 7F4A0280
	s_mov_b64 exec, s[82:83]                                   // 000000005288: BEFE0152
	buffer_load_dword v165, v253, s[16:19], 0 idxen            // 00000000528C: E0502000 8004A5FD
	s_mov_b32 exec_lo, -1                                      // 000000005294: BEFE00C1
	s_mov_b32 exec_hi, -1                                      // 000000005298: BEFF00C1
	v_mov_b32_e32 v166, 0                                      // 00000000529C: 7F4C0280
	s_mov_b64 exec, s[82:83]                                   // 0000000052A0: BEFE0152
	buffer_load_dword v166, v254, s[16:19], 0 idxen            // 0000000052A4: E0502000 8004A6FE
	s_mov_b32 exec_lo, -1                                      // 0000000052AC: BEFE00C1
	s_mov_b32 exec_hi, -1                                      // 0000000052B0: BEFF00C1
	v_mov_b32_e32 v167, 0                                      // 0000000052B4: 7F4E0280
	s_mov_b64 exec, s[82:83]                                   // 0000000052B8: BEFE0152
	buffer_load_dword v167, v255, s[16:19], 0 idxen            // 0000000052BC: E0502000 8004A7FF
	s_mov_b32 exec_lo, -1                                      // 0000000052C4: BEFE00C1
	s_mov_b32 exec_hi, -1                                      // 0000000052C8: BEFF00C1
	s_mul_i32 s60, 4, s7                                       // 0000000052CC: 923C0784
	s_cmp_lt_i32 1, s72                                        // 0000000052D0: BF044881
	s_cselect_b32 s60, s60, 0                                  // 0000000052D4: 853C803C
	v_add_u32_e32 v252, s60, v252                              // 0000000052D8: 69F9F83C
	v_add_u32_e32 v253, s60, v253                              // 0000000052DC: 69FBFA3C
	v_add_u32_e32 v254, s60, v254                              // 0000000052E0: 69FDFC3C
	v_add_u32_e32 v255, s60, v255                              // 0000000052E4: 69FFFE3C
	s_waitcnt lgkmcnt(0)                                       // 0000000052E8: BF8CC07F
	s_barrier                                                  // 0000000052EC: BF8A0000
	ds_read_b128 a[48:51], v23 offset:17408                    // 0000000052F0: DBFE4400 30000017
	ds_read_b128 a[52:55], v23 offset:17664                    // 0000000052F8: DBFE4500 34000017
	ds_read_b128 a[56:59], v23 offset:26112                    // 000000005300: DBFE6600 38000017
	ds_read_b128 a[60:63], v23 offset:26368                    // 000000005308: DBFE6700 3C000017
	ds_read_b128 a[0:3], v22                                   // 000000005310: DBFE0000 00000016
	ds_read_b128 a[4:7], v22 offset:512                        // 000000005318: DBFE0200 04000016
	ds_read_b128 a[8:11], v22 offset:2176                      // 000000005320: DBFE0880 08000016
	ds_read_b128 a[12:15], v22 offset:2688                     // 000000005328: DBFE0A80 0C000016
	s_waitcnt vmcnt(32) lgkmcnt(0)                             // 000000005330: BF8C8070
	s_barrier                                                  // 000000005334: BF8A0000
	s_cmp_lt_i32 1, s72                                        // 000000005338: BF044881
	s_cbranch_scc1 label_0560                                  // 00000000533C: BF850010
	v_mov_b32_e32 v168, 0                                      // 000000005340: 7F500280
	v_mov_b32_e32 v169, 0                                      // 000000005344: 7F520280
	v_mov_b32_e32 v170, 0                                      // 000000005348: 7F540280
	v_mov_b32_e32 v171, 0                                      // 00000000534C: 7F560280
	v_mov_b32_e32 v172, 0                                      // 000000005350: 7F580280
	v_mov_b32_e32 v173, 0                                      // 000000005354: 7F5A0280
	v_mov_b32_e32 v174, 0                                      // 000000005358: 7F5C0280
	v_mov_b32_e32 v175, 0                                      // 00000000535C: 7F5E0280
	v_mov_b32_e32 v176, 0                                      // 000000005360: 7F600280
	v_mov_b32_e32 v177, 0                                      // 000000005364: 7F620280
	v_mov_b32_e32 v178, 0                                      // 000000005368: 7F640280
	v_mov_b32_e32 v179, 0                                      // 00000000536C: 7F660280
	v_mov_b32_e32 v180, 0                                      // 000000005370: 7F680280
	v_mov_b32_e32 v181, 0                                      // 000000005374: 7F6A0280
	v_mov_b32_e32 v182, 0                                      // 000000005378: 7F6C0280
	v_mov_b32_e32 v183, 0                                      // 00000000537C: 7F6E0280

0000000000005380 <label_0560>:
	v_perm_b32 v200, v169, v168, s63                           // 000000005380: D1ED00C8 00FF51A9
	v_perm_b32 v201, v169, v168, s64                           // 000000005388: D1ED00C9 010351A9
	v_perm_b32 v202, v171, v170, s63                           // 000000005390: D1ED00CA 00FF55AB
	v_perm_b32 v203, v171, v170, s64                           // 000000005398: D1ED00CB 010355AB
	v_perm_b32 v204, v173, v172, s63                           // 0000000053A0: D1ED00CC 00FF59AD
	v_perm_b32 v205, v173, v172, s64                           // 0000000053A8: D1ED00CD 010359AD
	v_perm_b32 v206, v175, v174, s63                           // 0000000053B0: D1ED00CE 00FF5DAF
	v_perm_b32 v207, v175, v174, s64                           // 0000000053B8: D1ED00CF 01035DAF
	v_perm_b32 v208, v177, v176, s63                           // 0000000053C0: D1ED00D0 00FF61B1
	v_perm_b32 v209, v177, v176, s64                           // 0000000053C8: D1ED00D1 010361B1
	v_perm_b32 v210, v179, v178, s63                           // 0000000053D0: D1ED00D2 00FF65B3
	v_perm_b32 v211, v179, v178, s64                           // 0000000053D8: D1ED00D3 010365B3
	v_perm_b32 v212, v181, v180, s63                           // 0000000053E0: D1ED00D4 00FF69B5
	v_perm_b32 v213, v181, v180, s64                           // 0000000053E8: D1ED00D5 010369B5
	v_perm_b32 v214, v183, v182, s63                           // 0000000053F0: D1ED00D6 00FF6DB7
	v_perm_b32 v215, v183, v182, s64                           // 0000000053F8: D1ED00D7 01036DB7
	ds_write_b32 v13, v200 offset:17408                        // 000000005400: D81A4400 0000C80D
	ds_write_b32 v13, v201 offset:18464                        // 000000005408: D81A4820 0000C90D
	ds_write_b32 v13, v202 offset:17536                        // 000000005410: D81A4480 0000CA0D
	ds_write_b32 v13, v203 offset:18592                        // 000000005418: D81A48A0 0000CB0D
	ds_write_b32 v13, v204 offset:21760                        // 000000005420: D81A5500 0000CC0D
	ds_write_b32 v13, v205 offset:22816                        // 000000005428: D81A5920 0000CD0D
	ds_write_b32 v13, v206 offset:21888                        // 000000005430: D81A5580 0000CE0D
	ds_write_b32 v13, v207 offset:22944                        // 000000005438: D81A59A0 0000CF0D
	ds_write_b32 v13, v208 offset:26112                        // 000000005440: D81A6600 0000D00D
	ds_write_b32 v13, v209 offset:27168                        // 000000005448: D81A6A20 0000D10D
	ds_write_b32 v13, v210 offset:26240                        // 000000005450: D81A6680 0000D20D
	ds_write_b32 v13, v211 offset:27296                        // 000000005458: D81A6AA0 0000D30D
	ds_write_b32 v13, v212 offset:30464                        // 000000005460: D81A7700 0000D40D
	ds_write_b32 v13, v213 offset:31520                        // 000000005468: D81A7B20 0000D50D
	ds_write_b32 v13, v214 offset:30592                        // 000000005470: D81A7780 0000D60D
	ds_write_b32 v13, v215 offset:31648                        // 000000005478: D81A7BA0 0000D70D
	ds_write_b32 v11, v168                                     // 000000005480: D81A0000 0000A80B
	ds_write_b32 v11, v169 offset:1056                         // 000000005488: D81A0420 0000A90B
	ds_write_b32 v11, v170 offset:128                          // 000000005490: D81A0080 0000AA0B
	ds_write_b32 v11, v171 offset:1184                         // 000000005498: D81A04A0 0000AB0B
	ds_write_b32 v11, v172 offset:4352                         // 0000000054A0: D81A1100 0000AC0B
	ds_write_b32 v11, v173 offset:5408                         // 0000000054A8: D81A1520 0000AD0B
	ds_write_b32 v11, v174 offset:4480                         // 0000000054B0: D81A1180 0000AE0B
	ds_write_b32 v11, v175 offset:5536                         // 0000000054B8: D81A15A0 0000AF0B
	ds_write_b32 v11, v176 offset:8704                         // 0000000054C0: D81A2200 0000B00B
	ds_write_b32 v11, v177 offset:9760                         // 0000000054C8: D81A2620 0000B10B
	ds_write_b32 v11, v178 offset:8832                         // 0000000054D0: D81A2280 0000B20B
	ds_write_b32 v11, v179 offset:9888                         // 0000000054D8: D81A26A0 0000B30B
	ds_write_b32 v11, v180 offset:13056                        // 0000000054E0: D81A3300 0000B40B
	ds_write_b32 v11, v181 offset:14112                        // 0000000054E8: D81A3720 0000B50B
	ds_write_b32 v11, v182 offset:13184                        // 0000000054F0: D81A3380 0000B60B
	ds_write_b32 v11, v183 offset:14240                        // 0000000054F8: D81A37A0 0000B70B
	v_mov_b32_e32 v168, 0                                      // 000000005500: 7F500280
	s_mov_b64 exec, s[82:83]                                   // 000000005504: BEFE0152
	buffer_load_dword v168, v252, s[16:19], 0 idxen            // 000000005508: E0502000 8004A8FC
	s_mov_b32 exec_lo, -1                                      // 000000005510: BEFE00C1
	s_mov_b32 exec_hi, -1                                      // 000000005514: BEFF00C1
	v_mov_b32_e32 v169, 0                                      // 000000005518: 7F520280
	s_mov_b64 exec, s[82:83]                                   // 00000000551C: BEFE0152
	buffer_load_dword v169, v253, s[16:19], 0 idxen            // 000000005520: E0502000 8004A9FD
	s_mov_b32 exec_lo, -1                                      // 000000005528: BEFE00C1
	s_mov_b32 exec_hi, -1                                      // 00000000552C: BEFF00C1
	v_mov_b32_e32 v170, 0                                      // 000000005530: 7F540280
	s_mov_b64 exec, s[82:83]                                   // 000000005534: BEFE0152
	buffer_load_dword v170, v254, s[16:19], 0 idxen            // 000000005538: E0502000 8004AAFE
	s_mov_b32 exec_lo, -1                                      // 000000005540: BEFE00C1
	s_mov_b32 exec_hi, -1                                      // 000000005544: BEFF00C1
	v_mov_b32_e32 v171, 0                                      // 000000005548: 7F560280
	s_mov_b64 exec, s[82:83]                                   // 00000000554C: BEFE0152
	buffer_load_dword v171, v255, s[16:19], 0 idxen            // 000000005550: E0502000 8004ABFF
	s_mov_b32 exec_lo, -1                                      // 000000005558: BEFE00C1
	s_mov_b32 exec_hi, -1                                      // 00000000555C: BEFF00C1
	s_mul_i32 s60, 4, s7                                       // 000000005560: 923C0784
	s_cmp_lt_i32 1, s72                                        // 000000005564: BF044881
	s_cselect_b32 s60, s60, 0                                  // 000000005568: 853C803C
	v_add_u32_e32 v252, s60, v252                              // 00000000556C: 69F9F83C
	v_add_u32_e32 v253, s60, v253                              // 000000005570: 69FBFA3C
	v_add_u32_e32 v254, s60, v254                              // 000000005574: 69FDFC3C
	v_add_u32_e32 v255, s60, v255                              // 000000005578: 69FFFE3C
	v_mov_b32_e32 v172, 0                                      // 00000000557C: 7F580280
	s_mov_b64 exec, s[82:83]                                   // 000000005580: BEFE0152
	buffer_load_dword v172, v252, s[16:19], 0 idxen            // 000000005584: E0502000 8004ACFC
	s_mov_b32 exec_lo, -1                                      // 00000000558C: BEFE00C1
	s_mov_b32 exec_hi, -1                                      // 000000005590: BEFF00C1
	v_mov_b32_e32 v173, 0                                      // 000000005594: 7F5A0280
	s_mov_b64 exec, s[82:83]                                   // 000000005598: BEFE0152
	buffer_load_dword v173, v253, s[16:19], 0 idxen            // 00000000559C: E0502000 8004ADFD
	s_mov_b32 exec_lo, -1                                      // 0000000055A4: BEFE00C1
	s_mov_b32 exec_hi, -1                                      // 0000000055A8: BEFF00C1
	v_mov_b32_e32 v174, 0                                      // 0000000055AC: 7F5C0280
	s_mov_b64 exec, s[82:83]                                   // 0000000055B0: BEFE0152
	buffer_load_dword v174, v254, s[16:19], 0 idxen            // 0000000055B4: E0502000 8004AEFE
	s_mov_b32 exec_lo, -1                                      // 0000000055BC: BEFE00C1
	s_mov_b32 exec_hi, -1                                      // 0000000055C0: BEFF00C1
	v_mov_b32_e32 v175, 0                                      // 0000000055C4: 7F5E0280
	s_mov_b64 exec, s[82:83]                                   // 0000000055C8: BEFE0152
	buffer_load_dword v175, v255, s[16:19], 0 idxen            // 0000000055CC: E0502000 8004AFFF
	s_mov_b32 exec_lo, -1                                      // 0000000055D4: BEFE00C1
	s_mov_b32 exec_hi, -1                                      // 0000000055D8: BEFF00C1
	s_mul_i32 s60, 4, s7                                       // 0000000055DC: 923C0784
	s_cmp_lt_i32 1, s72                                        // 0000000055E0: BF044881
	s_cselect_b32 s60, s60, 0                                  // 0000000055E4: 853C803C
	v_add_u32_e32 v252, s60, v252                              // 0000000055E8: 69F9F83C
	v_add_u32_e32 v253, s60, v253                              // 0000000055EC: 69FBFA3C
	v_add_u32_e32 v254, s60, v254                              // 0000000055F0: 69FDFC3C
	v_add_u32_e32 v255, s60, v255                              // 0000000055F4: 69FFFE3C
	v_mov_b32_e32 v176, 0                                      // 0000000055F8: 7F600280
	s_mov_b64 exec, s[82:83]                                   // 0000000055FC: BEFE0152
	buffer_load_dword v176, v252, s[16:19], 0 idxen            // 000000005600: E0502000 8004B0FC
	s_mov_b32 exec_lo, -1                                      // 000000005608: BEFE00C1
	s_mov_b32 exec_hi, -1                                      // 00000000560C: BEFF00C1
	v_mov_b32_e32 v177, 0                                      // 000000005610: 7F620280
	s_mov_b64 exec, s[82:83]                                   // 000000005614: BEFE0152
	buffer_load_dword v177, v253, s[16:19], 0 idxen            // 000000005618: E0502000 8004B1FD
	s_mov_b32 exec_lo, -1                                      // 000000005620: BEFE00C1
	s_mov_b32 exec_hi, -1                                      // 000000005624: BEFF00C1
	v_mov_b32_e32 v178, 0                                      // 000000005628: 7F640280
	s_mov_b64 exec, s[82:83]                                   // 00000000562C: BEFE0152
	buffer_load_dword v178, v254, s[16:19], 0 idxen            // 000000005630: E0502000 8004B2FE
	s_mov_b32 exec_lo, -1                                      // 000000005638: BEFE00C1
	s_mov_b32 exec_hi, -1                                      // 00000000563C: BEFF00C1
	v_mov_b32_e32 v179, 0                                      // 000000005640: 7F660280
	s_mov_b64 exec, s[82:83]                                   // 000000005644: BEFE0152
	buffer_load_dword v179, v255, s[16:19], 0 idxen            // 000000005648: E0502000 8004B3FF
	s_mov_b32 exec_lo, -1                                      // 000000005650: BEFE00C1
	s_mov_b32 exec_hi, -1                                      // 000000005654: BEFF00C1
	s_mul_i32 s60, 4, s7                                       // 000000005658: 923C0784
	s_cmp_lt_i32 1, s72                                        // 00000000565C: BF044881
	s_cselect_b32 s60, s60, 0                                  // 000000005660: 853C803C
	v_add_u32_e32 v252, s60, v252                              // 000000005664: 69F9F83C
	v_add_u32_e32 v253, s60, v253                              // 000000005668: 69FBFA3C
	v_add_u32_e32 v254, s60, v254                              // 00000000566C: 69FDFC3C
	v_add_u32_e32 v255, s60, v255                              // 000000005670: 69FFFE3C
	v_mov_b32_e32 v180, 0                                      // 000000005674: 7F680280
	s_mov_b64 exec, s[82:83]                                   // 000000005678: BEFE0152
	buffer_load_dword v180, v252, s[16:19], 0 idxen            // 00000000567C: E0502000 8004B4FC
	s_mov_b32 exec_lo, -1                                      // 000000005684: BEFE00C1
	s_mov_b32 exec_hi, -1                                      // 000000005688: BEFF00C1
	v_mov_b32_e32 v181, 0                                      // 00000000568C: 7F6A0280
	s_mov_b64 exec, s[82:83]                                   // 000000005690: BEFE0152
	buffer_load_dword v181, v253, s[16:19], 0 idxen            // 000000005694: E0502000 8004B5FD
	s_mov_b32 exec_lo, -1                                      // 00000000569C: BEFE00C1
	s_mov_b32 exec_hi, -1                                      // 0000000056A0: BEFF00C1
	v_mov_b32_e32 v182, 0                                      // 0000000056A4: 7F6C0280
	s_mov_b64 exec, s[82:83]                                   // 0000000056A8: BEFE0152
	buffer_load_dword v182, v254, s[16:19], 0 idxen            // 0000000056AC: E0502000 8004B6FE
	s_mov_b32 exec_lo, -1                                      // 0000000056B4: BEFE00C1
	s_mov_b32 exec_hi, -1                                      // 0000000056B8: BEFF00C1
	v_mov_b32_e32 v183, 0                                      // 0000000056BC: 7F6E0280
	s_mov_b64 exec, s[82:83]                                   // 0000000056C0: BEFE0152
	buffer_load_dword v183, v255, s[16:19], 0 idxen            // 0000000056C4: E0502000 8004B7FF
	s_mov_b32 exec_lo, -1                                      // 0000000056CC: BEFE00C1
	s_mov_b32 exec_hi, -1                                      // 0000000056D0: BEFF00C1
	s_mul_i32 s60, 4, s7                                       // 0000000056D4: 923C0784
	s_cmp_lt_i32 2, s72                                        // 0000000056D8: BF044882
	s_cselect_b32 s60, s60, 0                                  // 0000000056DC: 853C803C
	v_add_u32_e32 v252, s60, v252                              // 0000000056E0: 69F9F83C
	v_add_u32_e32 v253, s60, v253                              // 0000000056E4: 69FBFA3C
	v_add_u32_e32 v254, s60, v254                              // 0000000056E8: 69FDFC3C
	v_add_u32_e32 v255, s60, v255                              // 0000000056EC: 69FFFE3C
	s_waitcnt lgkmcnt(0)                                       // 0000000056F0: BF8CC07F
	s_barrier                                                  // 0000000056F4: BF8A0000
	ds_read_b128 a[64:67], v23 offset:17408                    // 0000000056F8: DBFE4400 40000017
	ds_read_b128 a[68:71], v23 offset:17664                    // 000000005700: DBFE4500 44000017
	ds_read_b128 a[72:75], v23 offset:26112                    // 000000005708: DBFE6600 48000017
	ds_read_b128 a[76:79], v23 offset:26368                    // 000000005710: DBFE6700 4C000017
	ds_read_b128 a[16:19], v22                                 // 000000005718: DBFE0000 10000016
	ds_read_b128 a[20:23], v22 offset:512                      // 000000005720: DBFE0200 14000016
	ds_read_b128 a[24:27], v22 offset:2176                     // 000000005728: DBFE0880 18000016
	ds_read_b128 a[28:31], v22 offset:2688                     // 000000005730: DBFE0A80 1C000016
	s_waitcnt vmcnt(32) lgkmcnt(0)                             // 000000005738: BF8C8070
	s_barrier                                                  // 00000000573C: BF8A0000
	s_cmp_lt_i32 2, s72                                        // 000000005740: BF044882
	s_cbranch_scc1 label_0662                                  // 000000005744: BF850010
	v_mov_b32_e32 v184, 0                                      // 000000005748: 7F700280
	v_mov_b32_e32 v185, 0                                      // 00000000574C: 7F720280
	v_mov_b32_e32 v186, 0                                      // 000000005750: 7F740280
	v_mov_b32_e32 v187, 0                                      // 000000005754: 7F760280
	v_mov_b32_e32 v188, 0                                      // 000000005758: 7F780280
	v_mov_b32_e32 v189, 0                                      // 00000000575C: 7F7A0280
	v_mov_b32_e32 v190, 0                                      // 000000005760: 7F7C0280
	v_mov_b32_e32 v191, 0                                      // 000000005764: 7F7E0280
	v_mov_b32_e32 v192, 0                                      // 000000005768: 7F800280
	v_mov_b32_e32 v193, 0                                      // 00000000576C: 7F820280
	v_mov_b32_e32 v194, 0                                      // 000000005770: 7F840280
	v_mov_b32_e32 v195, 0                                      // 000000005774: 7F860280
	v_mov_b32_e32 v196, 0                                      // 000000005778: 7F880280
	v_mov_b32_e32 v197, 0                                      // 00000000577C: 7F8A0280
	v_mov_b32_e32 v198, 0                                      // 000000005780: 7F8C0280
	v_mov_b32_e32 v199, 0                                      // 000000005784: 7F8E0280

0000000000005788 <label_0662>:
	v_perm_b32 v200, v185, v184, s63                           // 000000005788: D1ED00C8 00FF71B9
	v_perm_b32 v201, v185, v184, s64                           // 000000005790: D1ED00C9 010371B9
	v_perm_b32 v202, v187, v186, s63                           // 000000005798: D1ED00CA 00FF75BB
	v_perm_b32 v203, v187, v186, s64                           // 0000000057A0: D1ED00CB 010375BB
	v_perm_b32 v204, v189, v188, s63                           // 0000000057A8: D1ED00CC 00FF79BD
	v_perm_b32 v205, v189, v188, s64                           // 0000000057B0: D1ED00CD 010379BD
	v_perm_b32 v206, v191, v190, s63                           // 0000000057B8: D1ED00CE 00FF7DBF
	v_perm_b32 v207, v191, v190, s64                           // 0000000057C0: D1ED00CF 01037DBF
	v_perm_b32 v208, v193, v192, s63                           // 0000000057C8: D1ED00D0 00FF81C1
	v_perm_b32 v209, v193, v192, s64                           // 0000000057D0: D1ED00D1 010381C1
	v_perm_b32 v210, v195, v194, s63                           // 0000000057D8: D1ED00D2 00FF85C3
	v_perm_b32 v211, v195, v194, s64                           // 0000000057E0: D1ED00D3 010385C3
	v_perm_b32 v212, v197, v196, s63                           // 0000000057E8: D1ED00D4 00FF89C5
	v_perm_b32 v213, v197, v196, s64                           // 0000000057F0: D1ED00D5 010389C5
	v_perm_b32 v214, v199, v198, s63                           // 0000000057F8: D1ED00D6 00FF8DC7
	v_perm_b32 v215, v199, v198, s64                           // 000000005800: D1ED00D7 01038DC7
	ds_write_b32 v13, v200 offset:17408                        // 000000005808: D81A4400 0000C80D
	ds_write_b32 v13, v201 offset:18464                        // 000000005810: D81A4820 0000C90D
	ds_write_b32 v13, v202 offset:17536                        // 000000005818: D81A4480 0000CA0D
	ds_write_b32 v13, v203 offset:18592                        // 000000005820: D81A48A0 0000CB0D
	ds_write_b32 v13, v204 offset:21760                        // 000000005828: D81A5500 0000CC0D
	ds_write_b32 v13, v205 offset:22816                        // 000000005830: D81A5920 0000CD0D
	ds_write_b32 v13, v206 offset:21888                        // 000000005838: D81A5580 0000CE0D
	ds_write_b32 v13, v207 offset:22944                        // 000000005840: D81A59A0 0000CF0D
	ds_write_b32 v13, v208 offset:26112                        // 000000005848: D81A6600 0000D00D
	ds_write_b32 v13, v209 offset:27168                        // 000000005850: D81A6A20 0000D10D
	ds_write_b32 v13, v210 offset:26240                        // 000000005858: D81A6680 0000D20D
	ds_write_b32 v13, v211 offset:27296                        // 000000005860: D81A6AA0 0000D30D
	ds_write_b32 v13, v212 offset:30464                        // 000000005868: D81A7700 0000D40D
	ds_write_b32 v13, v213 offset:31520                        // 000000005870: D81A7B20 0000D50D
	ds_write_b32 v13, v214 offset:30592                        // 000000005878: D81A7780 0000D60D
	ds_write_b32 v13, v215 offset:31648                        // 000000005880: D81A7BA0 0000D70D
	ds_write_b32 v11, v184                                     // 000000005888: D81A0000 0000B80B
	ds_write_b32 v11, v185 offset:1056                         // 000000005890: D81A0420 0000B90B
	ds_write_b32 v11, v186 offset:128                          // 000000005898: D81A0080 0000BA0B
	ds_write_b32 v11, v187 offset:1184                         // 0000000058A0: D81A04A0 0000BB0B
	ds_write_b32 v11, v188 offset:4352                         // 0000000058A8: D81A1100 0000BC0B
	ds_write_b32 v11, v189 offset:5408                         // 0000000058B0: D81A1520 0000BD0B
	ds_write_b32 v11, v190 offset:4480                         // 0000000058B8: D81A1180 0000BE0B
	ds_write_b32 v11, v191 offset:5536                         // 0000000058C0: D81A15A0 0000BF0B
	ds_write_b32 v11, v192 offset:8704                         // 0000000058C8: D81A2200 0000C00B
	ds_write_b32 v11, v193 offset:9760                         // 0000000058D0: D81A2620 0000C10B
	ds_write_b32 v11, v194 offset:8832                         // 0000000058D8: D81A2280 0000C20B
	ds_write_b32 v11, v195 offset:9888                         // 0000000058E0: D81A26A0 0000C30B
	ds_write_b32 v11, v196 offset:13056                        // 0000000058E8: D81A3300 0000C40B
	ds_write_b32 v11, v197 offset:14112                        // 0000000058F0: D81A3720 0000C50B
	ds_write_b32 v11, v198 offset:13184                        // 0000000058F8: D81A3380 0000C60B
	ds_write_b32 v11, v199 offset:14240                        // 000000005900: D81A37A0 0000C70B
	v_mov_b32_e32 v184, 0                                      // 000000005908: 7F700280
	s_mov_b64 exec, s[82:83]                                   // 00000000590C: BEFE0152
	buffer_load_dword v184, v252, s[16:19], 0 idxen            // 000000005910: E0502000 8004B8FC
	s_mov_b32 exec_lo, -1                                      // 000000005918: BEFE00C1
	s_mov_b32 exec_hi, -1                                      // 00000000591C: BEFF00C1
	v_mov_b32_e32 v185, 0                                      // 000000005920: 7F720280
	s_mov_b64 exec, s[82:83]                                   // 000000005924: BEFE0152
	buffer_load_dword v185, v253, s[16:19], 0 idxen            // 000000005928: E0502000 8004B9FD
	s_mov_b32 exec_lo, -1                                      // 000000005930: BEFE00C1
	s_mov_b32 exec_hi, -1                                      // 000000005934: BEFF00C1
	v_mov_b32_e32 v186, 0                                      // 000000005938: 7F740280
	s_mov_b64 exec, s[82:83]                                   // 00000000593C: BEFE0152
	buffer_load_dword v186, v254, s[16:19], 0 idxen            // 000000005940: E0502000 8004BAFE
	s_mov_b32 exec_lo, -1                                      // 000000005948: BEFE00C1
	s_mov_b32 exec_hi, -1                                      // 00000000594C: BEFF00C1
	v_mov_b32_e32 v187, 0                                      // 000000005950: 7F760280
	s_mov_b64 exec, s[82:83]                                   // 000000005954: BEFE0152
	buffer_load_dword v187, v255, s[16:19], 0 idxen            // 000000005958: E0502000 8004BBFF
	s_mov_b32 exec_lo, -1                                      // 000000005960: BEFE00C1
	s_mov_b32 exec_hi, -1                                      // 000000005964: BEFF00C1
	s_mul_i32 s60, 4, s7                                       // 000000005968: 923C0784
	s_cmp_lt_i32 2, s72                                        // 00000000596C: BF044882
	s_cselect_b32 s60, s60, 0                                  // 000000005970: 853C803C
	v_add_u32_e32 v252, s60, v252                              // 000000005974: 69F9F83C
	v_add_u32_e32 v253, s60, v253                              // 000000005978: 69FBFA3C
	v_add_u32_e32 v254, s60, v254                              // 00000000597C: 69FDFC3C
	v_add_u32_e32 v255, s60, v255                              // 000000005980: 69FFFE3C
	v_mov_b32_e32 v188, 0                                      // 000000005984: 7F780280
	s_mov_b64 exec, s[82:83]                                   // 000000005988: BEFE0152
	buffer_load_dword v188, v252, s[16:19], 0 idxen            // 00000000598C: E0502000 8004BCFC
	s_mov_b32 exec_lo, -1                                      // 000000005994: BEFE00C1
	s_mov_b32 exec_hi, -1                                      // 000000005998: BEFF00C1
	v_mov_b32_e32 v189, 0                                      // 00000000599C: 7F7A0280
	s_mov_b64 exec, s[82:83]                                   // 0000000059A0: BEFE0152
	buffer_load_dword v189, v253, s[16:19], 0 idxen            // 0000000059A4: E0502000 8004BDFD
	s_mov_b32 exec_lo, -1                                      // 0000000059AC: BEFE00C1
	s_mov_b32 exec_hi, -1                                      // 0000000059B0: BEFF00C1
	v_mov_b32_e32 v190, 0                                      // 0000000059B4: 7F7C0280
	s_mov_b64 exec, s[82:83]                                   // 0000000059B8: BEFE0152
	buffer_load_dword v190, v254, s[16:19], 0 idxen            // 0000000059BC: E0502000 8004BEFE
	s_mov_b32 exec_lo, -1                                      // 0000000059C4: BEFE00C1
	s_mov_b32 exec_hi, -1                                      // 0000000059C8: BEFF00C1
	v_mov_b32_e32 v191, 0                                      // 0000000059CC: 7F7E0280
	s_mov_b64 exec, s[82:83]                                   // 0000000059D0: BEFE0152
	buffer_load_dword v191, v255, s[16:19], 0 idxen            // 0000000059D4: E0502000 8004BFFF
	s_mov_b32 exec_lo, -1                                      // 0000000059DC: BEFE00C1
	s_mov_b32 exec_hi, -1                                      // 0000000059E0: BEFF00C1
	s_mul_i32 s60, 4, s7                                       // 0000000059E4: 923C0784
	s_cmp_lt_i32 2, s72                                        // 0000000059E8: BF044882
	s_cselect_b32 s60, s60, 0                                  // 0000000059EC: 853C803C
	v_add_u32_e32 v252, s60, v252                              // 0000000059F0: 69F9F83C
	v_add_u32_e32 v253, s60, v253                              // 0000000059F4: 69FBFA3C
	v_add_u32_e32 v254, s60, v254                              // 0000000059F8: 69FDFC3C
	v_add_u32_e32 v255, s60, v255                              // 0000000059FC: 69FFFE3C
	v_mov_b32_e32 v192, 0                                      // 000000005A00: 7F800280
	s_mov_b64 exec, s[82:83]                                   // 000000005A04: BEFE0152
	buffer_load_dword v192, v252, s[16:19], 0 idxen            // 000000005A08: E0502000 8004C0FC
	s_mov_b32 exec_lo, -1                                      // 000000005A10: BEFE00C1
	s_mov_b32 exec_hi, -1                                      // 000000005A14: BEFF00C1
	v_mov_b32_e32 v193, 0                                      // 000000005A18: 7F820280
	s_mov_b64 exec, s[82:83]                                   // 000000005A1C: BEFE0152
	buffer_load_dword v193, v253, s[16:19], 0 idxen            // 000000005A20: E0502000 8004C1FD
	s_mov_b32 exec_lo, -1                                      // 000000005A28: BEFE00C1
	s_mov_b32 exec_hi, -1                                      // 000000005A2C: BEFF00C1
	v_mov_b32_e32 v194, 0                                      // 000000005A30: 7F840280
	s_mov_b64 exec, s[82:83]                                   // 000000005A34: BEFE0152
	buffer_load_dword v194, v254, s[16:19], 0 idxen            // 000000005A38: E0502000 8004C2FE
	s_mov_b32 exec_lo, -1                                      // 000000005A40: BEFE00C1
	s_mov_b32 exec_hi, -1                                      // 000000005A44: BEFF00C1
	v_mov_b32_e32 v195, 0                                      // 000000005A48: 7F860280
	s_mov_b64 exec, s[82:83]                                   // 000000005A4C: BEFE0152
	buffer_load_dword v195, v255, s[16:19], 0 idxen            // 000000005A50: E0502000 8004C3FF
	s_mov_b32 exec_lo, -1                                      // 000000005A58: BEFE00C1
	s_mov_b32 exec_hi, -1                                      // 000000005A5C: BEFF00C1
	s_mul_i32 s60, 4, s7                                       // 000000005A60: 923C0784
	s_cmp_lt_i32 2, s72                                        // 000000005A64: BF044882
	s_cselect_b32 s60, s60, 0                                  // 000000005A68: 853C803C
	v_add_u32_e32 v252, s60, v252                              // 000000005A6C: 69F9F83C
	v_add_u32_e32 v253, s60, v253                              // 000000005A70: 69FBFA3C
	v_add_u32_e32 v254, s60, v254                              // 000000005A74: 69FDFC3C
	v_add_u32_e32 v255, s60, v255                              // 000000005A78: 69FFFE3C
	v_mov_b32_e32 v196, 0                                      // 000000005A7C: 7F880280
	s_mov_b64 exec, s[82:83]                                   // 000000005A80: BEFE0152
	buffer_load_dword v196, v252, s[16:19], 0 idxen            // 000000005A84: E0502000 8004C4FC
	s_mov_b32 exec_lo, -1                                      // 000000005A8C: BEFE00C1
	s_mov_b32 exec_hi, -1                                      // 000000005A90: BEFF00C1
	v_mov_b32_e32 v197, 0                                      // 000000005A94: 7F8A0280
	s_mov_b64 exec, s[82:83]                                   // 000000005A98: BEFE0152
	buffer_load_dword v197, v253, s[16:19], 0 idxen            // 000000005A9C: E0502000 8004C5FD
	s_mov_b32 exec_lo, -1                                      // 000000005AA4: BEFE00C1
	s_mov_b32 exec_hi, -1                                      // 000000005AA8: BEFF00C1
	v_mov_b32_e32 v198, 0                                      // 000000005AAC: 7F8C0280
	s_mov_b64 exec, s[82:83]                                   // 000000005AB0: BEFE0152
	buffer_load_dword v198, v254, s[16:19], 0 idxen            // 000000005AB4: E0502000 8004C6FE
	s_mov_b32 exec_lo, -1                                      // 000000005ABC: BEFE00C1
	s_mov_b32 exec_hi, -1                                      // 000000005AC0: BEFF00C1
	v_mov_b32_e32 v199, 0                                      // 000000005AC4: 7F8E0280
	s_mov_b64 exec, s[82:83]                                   // 000000005AC8: BEFE0152
	buffer_load_dword v199, v255, s[16:19], 0 idxen            // 000000005ACC: E0502000 8004C7FF
	s_mov_b32 exec_lo, -1                                      // 000000005AD4: BEFE00C1
	s_mov_b32 exec_hi, -1                                      // 000000005AD8: BEFF00C1
	s_mul_i32 s60, 4, s7                                       // 000000005ADC: 923C0784
	s_cmp_lt_i32 3, s72                                        // 000000005AE0: BF044883
	s_cselect_b32 s60, s60, 0                                  // 000000005AE4: 853C803C
	v_add_u32_e32 v252, s60, v252                              // 000000005AE8: 69F9F83C
	v_add_u32_e32 v253, s60, v253                              // 000000005AEC: 69FBFA3C
	v_add_u32_e32 v254, s60, v254                              // 000000005AF0: 69FDFC3C
	v_add_u32_e32 v255, s60, v255                              // 000000005AF4: 69FFFE3C
	s_waitcnt lgkmcnt(0)                                       // 000000005AF8: BF8CC07F
	s_barrier                                                  // 000000005AFC: BF8A0000
	ds_read_b128 a[80:83], v23 offset:17408                    // 000000005B00: DBFE4400 50000017
	ds_read_b128 a[84:87], v23 offset:17664                    // 000000005B08: DBFE4500 54000017
	ds_read_b128 a[88:91], v23 offset:26112                    // 000000005B10: DBFE6600 58000017
	ds_read_b128 a[92:95], v23 offset:26368                    // 000000005B18: DBFE6700 5C000017
	ds_read_b128 a[32:35], v22                                 // 000000005B20: DBFE0000 20000016
	ds_read_b128 a[36:39], v22 offset:512                      // 000000005B28: DBFE0200 24000016
	ds_read_b128 a[40:43], v22 offset:2176                     // 000000005B30: DBFE0880 28000016
	ds_read_b128 a[44:47], v22 offset:2688                     // 000000005B38: DBFE0A80 2C000016
	s_waitcnt vmcnt(32) lgkmcnt(0)                             // 000000005B40: BF8C8070
	s_barrier                                                  // 000000005B44: BF8A0000
	s_cmp_lt_i32 0, s72                                        // 000000005B48: BF044880
	s_cbranch_scc1 label_0764                                  // 000000005B4C: BF850010
	v_mov_b32_e32 v152, 0                                      // 000000005B50: 7F300280
	v_mov_b32_e32 v153, 0                                      // 000000005B54: 7F320280
	v_mov_b32_e32 v154, 0                                      // 000000005B58: 7F340280
	v_mov_b32_e32 v155, 0                                      // 000000005B5C: 7F360280
	v_mov_b32_e32 v156, 0                                      // 000000005B60: 7F380280
	v_mov_b32_e32 v157, 0                                      // 000000005B64: 7F3A0280
	v_mov_b32_e32 v158, 0                                      // 000000005B68: 7F3C0280
	v_mov_b32_e32 v159, 0                                      // 000000005B6C: 7F3E0280
	v_mov_b32_e32 v160, 0                                      // 000000005B70: 7F400280
	v_mov_b32_e32 v161, 0                                      // 000000005B74: 7F420280
	v_mov_b32_e32 v162, 0                                      // 000000005B78: 7F440280
	v_mov_b32_e32 v163, 0                                      // 000000005B7C: 7F460280
	v_mov_b32_e32 v164, 0                                      // 000000005B80: 7F480280
	v_mov_b32_e32 v165, 0                                      // 000000005B84: 7F4A0280
	v_mov_b32_e32 v166, 0                                      // 000000005B88: 7F4C0280
	v_mov_b32_e32 v167, 0                                      // 000000005B8C: 7F4E0280

0000000000005b90 <label_0764>:
	ds_write_b32 v11, v152                                     // 000000005B90: D81A0000 0000980B
	ds_write_b32 v11, v153 offset:1056                         // 000000005B98: D81A0420 0000990B
	ds_write_b32 v11, v154 offset:128                          // 000000005BA0: D81A0080 00009A0B
	ds_write_b32 v11, v155 offset:1184                         // 000000005BA8: D81A04A0 00009B0B
	ds_write_b32 v11, v156 offset:4352                         // 000000005BB0: D81A1100 00009C0B
	ds_write_b32 v11, v157 offset:5408                         // 000000005BB8: D81A1520 00009D0B
	ds_write_b32 v11, v158 offset:4480                         // 000000005BC0: D81A1180 00009E0B
	ds_write_b32 v11, v159 offset:5536                         // 000000005BC8: D81A15A0 00009F0B
	ds_write_b32 v11, v160 offset:8704                         // 000000005BD0: D81A2200 0000A00B
	ds_write_b32 v11, v161 offset:9760                         // 000000005BD8: D81A2620 0000A10B
	ds_write_b32 v11, v162 offset:8832                         // 000000005BE0: D81A2280 0000A20B
	ds_write_b32 v11, v163 offset:9888                         // 000000005BE8: D81A26A0 0000A30B
	ds_write_b32 v11, v164 offset:13056                        // 000000005BF0: D81A3300 0000A40B
	ds_write_b32 v11, v165 offset:14112                        // 000000005BF8: D81A3720 0000A50B
	ds_write_b32 v11, v166 offset:13184                        // 000000005C00: D81A3380 0000A60B
	ds_write_b32 v11, v167 offset:14240                        // 000000005C08: D81A37A0 0000A70B
	s_mov_b32 s71, s5                                          // 000000005C10: BEC70005
	v_lshrrev_b32_e32 v28, 4, v0                               // 000000005C14: 20380084
	v_and_b32_e32 v29, 1, v28                                  // 000000005C18: 263A3881
	v_lshlrev_b32_e32 v29, 1, v29                              // 000000005C1C: 243A3A81
	v_mul_i32_i24_e32 v29, s71, v29                            // 000000005C20: 0C3A3A47
	v_and_b32_e32 v30, 2, v28                                  // 000000005C24: 263C3882
	v_lshlrev_b32_e32 v30, 5, v30                              // 000000005C28: 243C3C85
	v_add_u32_e32 v29, v30, v29                                // 000000005C2C: 683A3B1E
	v_and_b32_e32 v28, 15, v0                                  // 000000005C30: 2638008F
	v_lshlrev_b32_e32 v28, 2, v28                              // 000000005C34: 24383882
	v_add_u32_e32 v1, v28, v29                                 // 000000005C38: 68023B1C
	s_and_b32 s60, 1, s46                                      // 000000005C3C: 863C2E81
	s_mul_i32 s60, s60, s71                                    // 000000005C40: 923C473C
	s_mul_i32 s60, s60, 8                                      // 000000005C44: 923C883C
	s_lshr_b32 s61, s46, 1                                     // 000000005C48: 8F3D812E
	s_mul_i32 s61, s61, 0x80                                   // 000000005C4C: 923DFF3D 00000080
	s_add_u32 s60, s60, s61                                    // 000000005C54: 803C3D3C
	v_add_u32_e32 v1, s60, v1                                  // 000000005C58: 6802023C
	v_add_u32_e32 v2, s71, v1                                  // 000000005C5C: 68040247
	s_mul_i32 s60, 4, s71                                      // 000000005C60: 923C4784
	v_add_u32_e32 v3, s60, v1                                  // 000000005C64: 6806023C
	v_add_u32_e32 v4, s60, v2                                  // 000000005C68: 6808043C
	s_mov_b32 s71, s51                                         // 000000005C6C: BEC70033
	v_lshrrev_b32_e32 v28, 4, v0                               // 000000005C70: 20380084
	v_and_b32_e32 v29, 1, v28                                  // 000000005C74: 263A3881
	v_lshlrev_b32_e32 v29, 1, v29                              // 000000005C78: 243A3A81
	v_mul_i32_i24_e32 v29, s71, v29                            // 000000005C7C: 0C3A3A47
	v_and_b32_e32 v30, 2, v28                                  // 000000005C80: 263C3882
	v_lshlrev_b32_e32 v30, 5, v30                              // 000000005C84: 243C3C85
	v_add_u32_e32 v29, v30, v29                                // 000000005C88: 683A3B1E
	v_and_b32_e32 v28, 15, v0                                  // 000000005C8C: 2638008F
	v_lshlrev_b32_e32 v28, 2, v28                              // 000000005C90: 24383882
	v_add_u32_e32 v252, v28, v29                               // 000000005C94: 69F83B1C
	s_and_b32 s60, 1, s46                                      // 000000005C98: 863C2E81
	s_mul_i32 s60, s60, s71                                    // 000000005C9C: 923C473C
	s_mul_i32 s60, s60, 8                                      // 000000005CA0: 923C883C
	s_lshr_b32 s61, s46, 1                                     // 000000005CA4: 8F3D812E
	s_mul_i32 s61, s61, 0x80                                   // 000000005CA8: 923DFF3D 00000080
	s_add_u32 s60, s60, s61                                    // 000000005CB0: 803C3D3C
	v_add_u32_e32 v252, s60, v252                              // 000000005CB4: 69F9F83C
	v_add_u32_e32 v253, s71, v252                              // 000000005CB8: 69FBF847
	s_mul_i32 s60, 4, s71                                      // 000000005CBC: 923C4784
	v_add_u32_e32 v254, s60, v252                              // 000000005CC0: 69FDF83C
	v_add_u32_e32 v255, s60, v253                              // 000000005CC4: 69FFFA3C
	v_lshrrev_b32_e32 v1, 2, v1                                // 000000005CC8: 20020282
	v_lshrrev_b32_e32 v2, 2, v2                                // 000000005CCC: 20040482
	v_lshrrev_b32_e32 v3, 2, v3                                // 000000005CD0: 20060682
	v_lshrrev_b32_e32 v4, 2, v4                                // 000000005CD4: 20080882
	v_lshrrev_b32_e32 v252, 2, v252                            // 000000005CD8: 21F9F882
	v_lshrrev_b32_e32 v253, 2, v253                            // 000000005CDC: 21FBFA82
	v_lshrrev_b32_e32 v254, 2, v254                            // 000000005CE0: 21FDFC82
	v_lshrrev_b32_e32 v255, 2, v255                            // 000000005CE4: 21FFFE82
	v_mov_b32_e32 v32, 0                                       // 000000005CE8: 7E400280
	s_mov_b64 exec, s[82:83]                                   // 000000005CEC: BEFE0152
	buffer_load_dword v32, v1, s[8:11], 0 idxen                // 000000005CF0: E0502000 80022001
	s_mov_b32 exec_lo, -1                                      // 000000005CF8: BEFE00C1
	s_mov_b32 exec_hi, -1                                      // 000000005CFC: BEFF00C1
	v_mov_b32_e32 v33, 0                                       // 000000005D00: 7E420280
	s_mov_b64 exec, s[82:83]                                   // 000000005D04: BEFE0152
	buffer_load_dword v33, v2, s[8:11], 0 idxen                // 000000005D08: E0502000 80022102
	s_mov_b32 exec_lo, -1                                      // 000000005D10: BEFE00C1
	s_mov_b32 exec_hi, -1                                      // 000000005D14: BEFF00C1
	v_mov_b32_e32 v34, 0                                       // 000000005D18: 7E440280
	s_mov_b64 exec, s[82:83]                                   // 000000005D1C: BEFE0152
	buffer_load_dword v34, v3, s[8:11], 0 idxen                // 000000005D20: E0502000 80022203
	s_mov_b32 exec_lo, -1                                      // 000000005D28: BEFE00C1
	s_mov_b32 exec_hi, -1                                      // 000000005D2C: BEFF00C1
	v_mov_b32_e32 v35, 0                                       // 000000005D30: 7E460280
	s_mov_b64 exec, s[82:83]                                   // 000000005D34: BEFE0152
	buffer_load_dword v35, v4, s[8:11], 0 idxen                // 000000005D38: E0502000 80022304
	s_mov_b32 exec_lo, -1                                      // 000000005D40: BEFE00C1
	s_mov_b32 exec_hi, -1                                      // 000000005D44: BEFF00C1
	v_mov_b32_e32 v40, 0                                       // 000000005D48: 7E500280
	s_mov_b64 exec, s[82:83]                                   // 000000005D4C: BEFE0152
	buffer_load_dword v40, v252, s[20:23], 0 idxen             // 000000005D50: E0502000 800528FC
	s_mov_b32 exec_lo, -1                                      // 000000005D58: BEFE00C1
	s_mov_b32 exec_hi, -1                                      // 000000005D5C: BEFF00C1
	v_mov_b32_e32 v41, 0                                       // 000000005D60: 7E520280
	s_mov_b64 exec, s[82:83]                                   // 000000005D64: BEFE0152
	buffer_load_dword v41, v253, s[20:23], 0 idxen             // 000000005D68: E0502000 800529FD
	s_mov_b32 exec_lo, -1                                      // 000000005D70: BEFE00C1
	s_mov_b32 exec_hi, -1                                      // 000000005D74: BEFF00C1
	v_mov_b32_e32 v42, 0                                       // 000000005D78: 7E540280
	s_mov_b64 exec, s[82:83]                                   // 000000005D7C: BEFE0152
	buffer_load_dword v42, v254, s[20:23], 0 idxen             // 000000005D80: E0502000 80052AFE
	s_mov_b32 exec_lo, -1                                      // 000000005D88: BEFE00C1
	s_mov_b32 exec_hi, -1                                      // 000000005D8C: BEFF00C1
	v_mov_b32_e32 v43, 0                                       // 000000005D90: 7E560280
	s_mov_b64 exec, s[82:83]                                   // 000000005D94: BEFE0152
	buffer_load_dword v43, v255, s[20:23], 0 idxen             // 000000005D98: E0502000 80052BFF
	s_mov_b32 exec_lo, -1                                      // 000000005DA0: BEFE00C1
	s_mov_b32 exec_hi, -1                                      // 000000005DA4: BEFF00C1
	s_waitcnt lgkmcnt(0)                                       // 000000005DA8: BF8CC07F
	s_barrier                                                  // 000000005DAC: BF8A0000
	ds_read_b128 a[96:99], v22                                 // 000000005DB0: DBFE0000 60000016
	ds_read_b128 a[100:103], v22 offset:512                    // 000000005DB8: DBFE0200 64000016
	ds_read_b128 a[104:107], v22 offset:2176                   // 000000005DC0: DBFE0880 68000016
	ds_read_b128 a[108:111], v22 offset:2688                   // 000000005DC8: DBFE0A80 6C000016
	v_add_u32_e32 v1, s68, v1                                  // 000000005DD0: 68020244
	v_add_u32_e32 v2, s68, v2                                  // 000000005DD4: 68040444
	v_add_u32_e32 v3, s68, v3                                  // 000000005DD8: 68060644
	v_add_u32_e32 v4, s68, v4                                  // 000000005DDC: 68080844
	v_add_u32_e32 v252, s100, v252                             // 000000005DE0: 69F9F864
	v_add_u32_e32 v253, s100, v253                             // 000000005DE4: 69FBFA64
	v_add_u32_e32 v254, s100, v254                             // 000000005DE8: 69FDFC64
	v_add_u32_e32 v255, s100, v255                             // 000000005DEC: 69FFFE64
	s_waitcnt vmcnt(24) lgkmcnt(0)                             // 000000005DF0: BF8C4078
	s_barrier                                                  // 000000005DF4: BF8A0000
	s_cmp_lt_i32 1, s72                                        // 000000005DF8: BF044881
	s_cbranch_scc1 label_0810                                  // 000000005DFC: BF850010
	v_mov_b32_e32 v168, 0                                      // 000000005E00: 7F500280
	v_mov_b32_e32 v169, 0                                      // 000000005E04: 7F520280
	v_mov_b32_e32 v170, 0                                      // 000000005E08: 7F540280
	v_mov_b32_e32 v171, 0                                      // 000000005E0C: 7F560280
	v_mov_b32_e32 v172, 0                                      // 000000005E10: 7F580280
	v_mov_b32_e32 v173, 0                                      // 000000005E14: 7F5A0280
	v_mov_b32_e32 v174, 0                                      // 000000005E18: 7F5C0280
	v_mov_b32_e32 v175, 0                                      // 000000005E1C: 7F5E0280
	v_mov_b32_e32 v176, 0                                      // 000000005E20: 7F600280
	v_mov_b32_e32 v177, 0                                      // 000000005E24: 7F620280
	v_mov_b32_e32 v178, 0                                      // 000000005E28: 7F640280
	v_mov_b32_e32 v179, 0                                      // 000000005E2C: 7F660280
	v_mov_b32_e32 v180, 0                                      // 000000005E30: 7F680280
	v_mov_b32_e32 v181, 0                                      // 000000005E34: 7F6A0280
	v_mov_b32_e32 v182, 0                                      // 000000005E38: 7F6C0280
	v_mov_b32_e32 v183, 0                                      // 000000005E3C: 7F6E0280

0000000000005e40 <label_0810>:
	ds_write_b32 v11, v168                                     // 000000005E40: D81A0000 0000A80B
	ds_write_b32 v11, v169 offset:1056                         // 000000005E48: D81A0420 0000A90B
	ds_write_b32 v11, v170 offset:128                          // 000000005E50: D81A0080 0000AA0B
	ds_write_b32 v11, v171 offset:1184                         // 000000005E58: D81A04A0 0000AB0B
	ds_write_b32 v11, v172 offset:4352                         // 000000005E60: D81A1100 0000AC0B
	ds_write_b32 v11, v173 offset:5408                         // 000000005E68: D81A1520 0000AD0B
	ds_write_b32 v11, v174 offset:4480                         // 000000005E70: D81A1180 0000AE0B
	ds_write_b32 v11, v175 offset:5536                         // 000000005E78: D81A15A0 0000AF0B
	ds_write_b32 v11, v176 offset:8704                         // 000000005E80: D81A2200 0000B00B
	ds_write_b32 v11, v177 offset:9760                         // 000000005E88: D81A2620 0000B10B
	ds_write_b32 v11, v178 offset:8832                         // 000000005E90: D81A2280 0000B20B
	ds_write_b32 v11, v179 offset:9888                         // 000000005E98: D81A26A0 0000B30B
	ds_write_b32 v11, v180 offset:13056                        // 000000005EA0: D81A3300 0000B40B
	ds_write_b32 v11, v181 offset:14112                        // 000000005EA8: D81A3720 0000B50B
	ds_write_b32 v11, v182 offset:13184                        // 000000005EB0: D81A3380 0000B60B
	ds_write_b32 v11, v183 offset:14240                        // 000000005EB8: D81A37A0 0000B70B
	v_mov_b32_e32 v36, 0                                       // 000000005EC0: 7E480280
	s_mov_b64 exec, s[82:83]                                   // 000000005EC4: BEFE0152
	buffer_load_dword v36, v1, s[8:11], 0 idxen                // 000000005EC8: E0502000 80022401
	s_mov_b32 exec_lo, -1                                      // 000000005ED0: BEFE00C1
	s_mov_b32 exec_hi, -1                                      // 000000005ED4: BEFF00C1
	v_mov_b32_e32 v37, 0                                       // 000000005ED8: 7E4A0280
	s_mov_b64 exec, s[82:83]                                   // 000000005EDC: BEFE0152
	buffer_load_dword v37, v2, s[8:11], 0 idxen                // 000000005EE0: E0502000 80022502
	s_mov_b32 exec_lo, -1                                      // 000000005EE8: BEFE00C1
	s_mov_b32 exec_hi, -1                                      // 000000005EEC: BEFF00C1
	v_mov_b32_e32 v38, 0                                       // 000000005EF0: 7E4C0280
	s_mov_b64 exec, s[82:83]                                   // 000000005EF4: BEFE0152
	buffer_load_dword v38, v3, s[8:11], 0 idxen                // 000000005EF8: E0502000 80022603
	s_mov_b32 exec_lo, -1                                      // 000000005F00: BEFE00C1
	s_mov_b32 exec_hi, -1                                      // 000000005F04: BEFF00C1
	v_mov_b32_e32 v39, 0                                       // 000000005F08: 7E4E0280
	s_mov_b64 exec, s[82:83]                                   // 000000005F0C: BEFE0152
	buffer_load_dword v39, v4, s[8:11], 0 idxen                // 000000005F10: E0502000 80022704
	s_mov_b32 exec_lo, -1                                      // 000000005F18: BEFE00C1
	s_mov_b32 exec_hi, -1                                      // 000000005F1C: BEFF00C1
	v_mov_b32_e32 v44, 0                                       // 000000005F20: 7E580280
	s_mov_b64 exec, s[82:83]                                   // 000000005F24: BEFE0152
	buffer_load_dword v44, v252, s[20:23], 0 idxen             // 000000005F28: E0502000 80052CFC
	s_mov_b32 exec_lo, -1                                      // 000000005F30: BEFE00C1
	s_mov_b32 exec_hi, -1                                      // 000000005F34: BEFF00C1
	v_mov_b32_e32 v45, 0                                       // 000000005F38: 7E5A0280
	s_mov_b64 exec, s[82:83]                                   // 000000005F3C: BEFE0152
	buffer_load_dword v45, v253, s[20:23], 0 idxen             // 000000005F40: E0502000 80052DFD
	s_mov_b32 exec_lo, -1                                      // 000000005F48: BEFE00C1
	s_mov_b32 exec_hi, -1                                      // 000000005F4C: BEFF00C1
	v_mov_b32_e32 v46, 0                                       // 000000005F50: 7E5C0280
	s_mov_b64 exec, s[82:83]                                   // 000000005F54: BEFE0152
	buffer_load_dword v46, v254, s[20:23], 0 idxen             // 000000005F58: E0502000 80052EFE
	s_mov_b32 exec_lo, -1                                      // 000000005F60: BEFE00C1
	s_mov_b32 exec_hi, -1                                      // 000000005F64: BEFF00C1
	v_mov_b32_e32 v47, 0                                       // 000000005F68: 7E5E0280
	s_mov_b64 exec, s[82:83]                                   // 000000005F6C: BEFE0152
	buffer_load_dword v47, v255, s[20:23], 0 idxen             // 000000005F70: E0502000 80052FFF
	s_mov_b32 exec_lo, -1                                      // 000000005F78: BEFE00C1
	s_mov_b32 exec_hi, -1                                      // 000000005F7C: BEFF00C1
	s_waitcnt lgkmcnt(0)                                       // 000000005F80: BF8CC07F
	s_barrier                                                  // 000000005F84: BF8A0000
	ds_read_b128 a[112:115], v22                               // 000000005F88: DBFE0000 70000016
	ds_read_b128 a[116:119], v22 offset:512                    // 000000005F90: DBFE0200 74000016
	ds_read_b128 a[120:123], v22 offset:2176                   // 000000005F98: DBFE0880 78000016
	ds_read_b128 a[124:127], v22 offset:2688                   // 000000005FA0: DBFE0A80 7C000016
	v_add_u32_e32 v1, s68, v1                                  // 000000005FA8: 68020244
	v_add_u32_e32 v2, s68, v2                                  // 000000005FAC: 68040444
	v_add_u32_e32 v3, s68, v3                                  // 000000005FB0: 68060644
	v_add_u32_e32 v4, s68, v4                                  // 000000005FB4: 68080844
	v_add_u32_e32 v252, s100, v252                             // 000000005FB8: 69F9F864
	v_add_u32_e32 v253, s100, v253                             // 000000005FBC: 69FBFA64
	v_add_u32_e32 v254, s100, v254                             // 000000005FC0: 69FDFC64
	v_add_u32_e32 v255, s100, v255                             // 000000005FC4: 69FFFE64
	s_waitcnt vmcnt(16) lgkmcnt(0)                             // 000000005FC8: BF8C4070
	s_barrier                                                  // 000000005FCC: BF8A0000
	s_cmp_lt_i32 2, s72                                        // 000000005FD0: BF044882
	s_cbranch_scc1 label_0886                                  // 000000005FD4: BF850010
	v_mov_b32_e32 v184, 0                                      // 000000005FD8: 7F700280
	v_mov_b32_e32 v185, 0                                      // 000000005FDC: 7F720280
	v_mov_b32_e32 v186, 0                                      // 000000005FE0: 7F740280
	v_mov_b32_e32 v187, 0                                      // 000000005FE4: 7F760280
	v_mov_b32_e32 v188, 0                                      // 000000005FE8: 7F780280
	v_mov_b32_e32 v189, 0                                      // 000000005FEC: 7F7A0280
	v_mov_b32_e32 v190, 0                                      // 000000005FF0: 7F7C0280
	v_mov_b32_e32 v191, 0                                      // 000000005FF4: 7F7E0280
	v_mov_b32_e32 v192, 0                                      // 000000005FF8: 7F800280
	v_mov_b32_e32 v193, 0                                      // 000000005FFC: 7F820280
	v_mov_b32_e32 v194, 0                                      // 000000006000: 7F840280
	v_mov_b32_e32 v195, 0                                      // 000000006004: 7F860280
	v_mov_b32_e32 v196, 0                                      // 000000006008: 7F880280
	v_mov_b32_e32 v197, 0                                      // 00000000600C: 7F8A0280
	v_mov_b32_e32 v198, 0                                      // 000000006010: 7F8C0280
	v_mov_b32_e32 v199, 0                                      // 000000006014: 7F8E0280

0000000000006018 <label_0886>:
	ds_write_b32 v11, v184                                     // 000000006018: D81A0000 0000B80B
	ds_write_b32 v11, v185 offset:1056                         // 000000006020: D81A0420 0000B90B
	ds_write_b32 v11, v186 offset:128                          // 000000006028: D81A0080 0000BA0B
	ds_write_b32 v11, v187 offset:1184                         // 000000006030: D81A04A0 0000BB0B
	ds_write_b32 v11, v188 offset:4352                         // 000000006038: D81A1100 0000BC0B
	ds_write_b32 v11, v189 offset:5408                         // 000000006040: D81A1520 0000BD0B
	ds_write_b32 v11, v190 offset:4480                         // 000000006048: D81A1180 0000BE0B
	ds_write_b32 v11, v191 offset:5536                         // 000000006050: D81A15A0 0000BF0B
	ds_write_b32 v11, v192 offset:8704                         // 000000006058: D81A2200 0000C00B
	ds_write_b32 v11, v193 offset:9760                         // 000000006060: D81A2620 0000C10B
	ds_write_b32 v11, v194 offset:8832                         // 000000006068: D81A2280 0000C20B
	ds_write_b32 v11, v195 offset:9888                         // 000000006070: D81A26A0 0000C30B
	ds_write_b32 v11, v196 offset:13056                        // 000000006078: D81A3300 0000C40B
	ds_write_b32 v11, v197 offset:14112                        // 000000006080: D81A3720 0000C50B
	ds_write_b32 v11, v198 offset:13184                        // 000000006088: D81A3380 0000C60B
	ds_write_b32 v11, v199 offset:14240                        // 000000006090: D81A37A0 0000C70B
	s_waitcnt lgkmcnt(0)                                       // 000000006098: BF8CC07F
	s_barrier                                                  // 00000000609C: BF8A0000
	ds_read_b128 a[128:131], v22                               // 0000000060A0: DBFE0000 80000016
	ds_read_b128 a[132:135], v22 offset:512                    // 0000000060A8: DBFE0200 84000016
	ds_read_b128 a[136:139], v22 offset:2176                   // 0000000060B0: DBFE0880 88000016
	ds_read_b128 a[140:143], v22 offset:2688                   // 0000000060B8: DBFE0A80 8C000016
	s_waitcnt vmcnt(8) lgkmcnt(0)                              // 0000000060C0: BF8C0078
	s_barrier                                                  // 0000000060C4: BF8A0000
	buffer_load_dword v9, s[24:27], 0 idxen lds                // 0000000060C8: E0512000 80060009
	s_mov_b32 m0, s81                                          // 0000000060D0: BEFC0051
	v_add_u32_e32 v9, s69, v9                                  // 0000000060D4: 68121245
	v_perm_b32 v84, v33, v32, s63                              // 0000000060D8: D1ED0054 00FE4121
	v_perm_b32 v85, v33, v32, s64                              // 0000000060E0: D1ED0055 01024121
	v_perm_b32 v86, v35, v34, s63                              // 0000000060E8: D1ED0056 00FE4523
	v_perm_b32 v87, v35, v34, s64                              // 0000000060F0: D1ED0057 01024523
	ds_write_b32 v13, v84 offset:4352                          // 0000000060F8: D81A1100 0000540D
	ds_write_b32 v13, v85 offset:5408                          // 000000006100: D81A1520 0000550D
	ds_write_b32 v13, v86 offset:4480                          // 000000006108: D81A1180 0000560D
	ds_write_b32 v13, v87 offset:5536                          // 000000006110: D81A15A0 0000570D
	ds_write_b32 v11, v32                                      // 000000006118: D81A0000 0000200B
	ds_write_b32 v11, v33 offset:1056                          // 000000006120: D81A0420 0000210B
	ds_write_b32 v11, v34 offset:128                           // 000000006128: D81A0080 0000220B
	ds_write_b32 v11, v35 offset:1184                          // 000000006130: D81A04A0 0000230B
	buffer_load_dword v9, s[24:27], 0 idxen lds                // 000000006138: E0512000 80060009
	s_mov_b32 m0, s80                                          // 000000006140: BEFC0050
	v_add_u32_e32 v9, s69, v9                                  // 000000006144: 68121245
	v_perm_b32 v88, v41, v40, s63                              // 000000006148: D1ED0058 00FE5129
	v_perm_b32 v89, v41, v40, s64                              // 000000006150: D1ED0059 01025129
	v_perm_b32 v90, v43, v42, s63                              // 000000006158: D1ED005A 00FE552B
	v_perm_b32 v91, v43, v42, s64                              // 000000006160: D1ED005B 0102552B
	ds_write_b32 v13, v88 offset:13056                         // 000000006168: D81A3300 0000580D
	ds_write_b32 v13, v89 offset:14112                         // 000000006170: D81A3720 0000590D
	ds_write_b32 v13, v90 offset:13184                         // 000000006178: D81A3380 00005A0D
	ds_write_b32 v13, v91 offset:14240                         // 000000006180: D81A37A0 00005B0D
	ds_write_b32 v11, v40 offset:8704                          // 000000006188: D81A2200 0000280B
	ds_write_b32 v11, v41 offset:9760                          // 000000006190: D81A2620 0000290B
	ds_write_b32 v11, v42 offset:8832                          // 000000006198: D81A2280 00002A0B
	ds_write_b32 v11, v43 offset:9888                          // 0000000061A0: D81A26A0 00002B0B
	s_waitcnt vmcnt(1) lgkmcnt(0)                              // 0000000061A8: BF8C0071
	s_barrier                                                  // 0000000061AC: BF8A0000
	ds_read_b128 a[144:147], v10                               // 0000000061B0: DBFE0000 9000000A
	ds_read_b128 a[148:151], v10 offset:512                    // 0000000061B8: DBFE0200 9400000A
	ds_read_b128 a[152:155], v10 offset:2176                   // 0000000061C0: DBFE0880 9800000A
	ds_read_b128 a[156:159], v10 offset:2688                   // 0000000061C8: DBFE0A80 9C00000A
	ds_read_b128 v[92:95], v10 offset:8704                     // 0000000061D0: D9FE2200 5C00000A
	ds_read_b128 v[96:99], v10 offset:9216                     // 0000000061D8: D9FE2400 6000000A
	ds_read_b128 v[100:103], v10 offset:10880                  // 0000000061E0: D9FE2A80 6400000A
	ds_read_b128 v[104:107], v10 offset:11392                  // 0000000061E8: D9FE2C80 6800000A
	ds_read_b32 v124, v21 offset:50688                         // 0000000061F0: D86CC600 7C000015
	ds_read_b32 v150, v21 offset:50944                         // 0000000061F8: D86CC700 96000015
	v_accvgpr_write_b32 a160, 0                                // 000000006200: D3D940A0 18000080
	v_mov_b32_e32 v152, 0                                      // 000000006208: 7F300280
	v_accvgpr_write_b32 a161, 0                                // 00000000620C: D3D940A1 18000080
	v_mov_b32_e32 v153, 0                                      // 000000006214: 7F320280
	v_accvgpr_write_b32 a162, 0                                // 000000006218: D3D940A2 18000080
	v_mov_b32_e32 v154, 0                                      // 000000006220: 7F340280
	v_accvgpr_write_b32 a163, 0                                // 000000006224: D3D940A3 18000080
	v_mov_b32_e32 v155, 0                                      // 00000000622C: 7F360280
	v_accvgpr_write_b32 a164, 0                                // 000000006230: D3D940A4 18000080
	v_mov_b32_e32 v156, 0                                      // 000000006238: 7F380280
	v_accvgpr_write_b32 a165, 0                                // 00000000623C: D3D940A5 18000080
	v_mov_b32_e32 v157, 0                                      // 000000006244: 7F3A0280
	v_accvgpr_write_b32 a166, 0                                // 000000006248: D3D940A6 18000080
	v_mov_b32_e32 v158, 0                                      // 000000006250: 7F3C0280
	v_accvgpr_write_b32 a167, 0                                // 000000006254: D3D940A7 18000080
	v_mov_b32_e32 v159, 0                                      // 00000000625C: 7F3E0280
	v_accvgpr_write_b32 a168, 0                                // 000000006260: D3D940A8 18000080
	v_mov_b32_e32 v160, 0                                      // 000000006268: 7F400280
	v_accvgpr_write_b32 a169, 0                                // 00000000626C: D3D940A9 18000080
	v_mov_b32_e32 v161, 0                                      // 000000006274: 7F420280
	v_accvgpr_write_b32 a170, 0                                // 000000006278: D3D940AA 18000080
	v_mov_b32_e32 v162, 0                                      // 000000006280: 7F440280
	v_accvgpr_write_b32 a171, 0                                // 000000006284: D3D940AB 18000080
	v_mov_b32_e32 v163, 0                                      // 00000000628C: 7F460280
	v_accvgpr_write_b32 a172, 0                                // 000000006290: D3D940AC 18000080
	v_mov_b32_e32 v164, 0                                      // 000000006298: 7F480280
	v_accvgpr_write_b32 a173, 0                                // 00000000629C: D3D940AD 18000080
	v_mov_b32_e32 v165, 0                                      // 0000000062A4: 7F4A0280
	v_accvgpr_write_b32 a174, 0                                // 0000000062A8: D3D940AE 18000080
	v_mov_b32_e32 v166, 0                                      // 0000000062B0: 7F4C0280
	v_accvgpr_write_b32 a175, 0                                // 0000000062B4: D3D940AF 18000080
	v_mov_b32_e32 v167, 0                                      // 0000000062BC: 7F4E0280
	v_accvgpr_write_b32 a176, 0                                // 0000000062C0: D3D940B0 18000080
	v_mov_b32_e32 v168, 0                                      // 0000000062C8: 7F500280
	v_accvgpr_write_b32 a177, 0                                // 0000000062CC: D3D940B1 18000080
	v_mov_b32_e32 v169, 0                                      // 0000000062D4: 7F520280
	v_accvgpr_write_b32 a178, 0                                // 0000000062D8: D3D940B2 18000080
	v_mov_b32_e32 v170, 0                                      // 0000000062E0: 7F540280
	v_accvgpr_write_b32 a179, 0                                // 0000000062E4: D3D940B3 18000080
	v_mov_b32_e32 v171, 0                                      // 0000000062EC: 7F560280
	v_accvgpr_write_b32 a180, 0                                // 0000000062F0: D3D940B4 18000080
	v_mov_b32_e32 v172, 0                                      // 0000000062F8: 7F580280
	v_accvgpr_write_b32 a181, 0                                // 0000000062FC: D3D940B5 18000080
	v_mov_b32_e32 v173, 0                                      // 000000006304: 7F5A0280
	v_accvgpr_write_b32 a182, 0                                // 000000006308: D3D940B6 18000080
	v_mov_b32_e32 v174, 0                                      // 000000006310: 7F5C0280
	v_accvgpr_write_b32 a183, 0                                // 000000006314: D3D940B7 18000080
	v_mov_b32_e32 v175, 0                                      // 00000000631C: 7F5E0280
	v_accvgpr_write_b32 a184, 0                                // 000000006320: D3D940B8 18000080
	v_mov_b32_e32 v176, 0                                      // 000000006328: 7F600280
	v_accvgpr_write_b32 a185, 0                                // 00000000632C: D3D940B9 18000080
	v_mov_b32_e32 v177, 0                                      // 000000006334: 7F620280
	v_accvgpr_write_b32 a186, 0                                // 000000006338: D3D940BA 18000080
	v_mov_b32_e32 v178, 0                                      // 000000006340: 7F640280
	v_accvgpr_write_b32 a187, 0                                // 000000006344: D3D940BB 18000080
	v_mov_b32_e32 v179, 0                                      // 00000000634C: 7F660280
	v_accvgpr_write_b32 a188, 0                                // 000000006350: D3D940BC 18000080
	v_mov_b32_e32 v180, 0                                      // 000000006358: 7F680280
	v_accvgpr_write_b32 a189, 0                                // 00000000635C: D3D940BD 18000080
	v_mov_b32_e32 v181, 0                                      // 000000006364: 7F6A0280
	v_accvgpr_write_b32 a190, 0                                // 000000006368: D3D940BE 18000080
	v_mov_b32_e32 v182, 0                                      // 000000006370: 7F6C0280
	v_accvgpr_write_b32 a191, 0                                // 000000006374: D3D940BF 18000080
	v_mov_b32_e32 v183, 0                                      // 00000000637C: 7F6E0280
	v_accvgpr_write_b32 a192, 0                                // 000000006380: D3D940C0 18000080
	v_mov_b32_e32 v184, 0                                      // 000000006388: 7F700280
	v_accvgpr_write_b32 a193, 0                                // 00000000638C: D3D940C1 18000080
	v_mov_b32_e32 v185, 0                                      // 000000006394: 7F720280
	v_accvgpr_write_b32 a194, 0                                // 000000006398: D3D940C2 18000080
	v_mov_b32_e32 v186, 0                                      // 0000000063A0: 7F740280
	v_accvgpr_write_b32 a195, 0                                // 0000000063A4: D3D940C3 18000080
	v_mov_b32_e32 v187, 0                                      // 0000000063AC: 7F760280
	v_accvgpr_write_b32 a196, 0                                // 0000000063B0: D3D940C4 18000080
	v_mov_b32_e32 v188, 0                                      // 0000000063B8: 7F780280
	v_accvgpr_write_b32 a197, 0                                // 0000000063BC: D3D940C5 18000080
	v_mov_b32_e32 v189, 0                                      // 0000000063C4: 7F7A0280
	v_accvgpr_write_b32 a198, 0                                // 0000000063C8: D3D940C6 18000080
	v_mov_b32_e32 v190, 0                                      // 0000000063D0: 7F7C0280
	v_accvgpr_write_b32 a199, 0                                // 0000000063D4: D3D940C7 18000080
	v_mov_b32_e32 v191, 0                                      // 0000000063DC: 7F7E0280
	v_accvgpr_write_b32 a200, 0                                // 0000000063E0: D3D940C8 18000080
	v_mov_b32_e32 v192, 0                                      // 0000000063E8: 7F800280
	v_accvgpr_write_b32 a201, 0                                // 0000000063EC: D3D940C9 18000080
	v_mov_b32_e32 v193, 0                                      // 0000000063F4: 7F820280
	v_accvgpr_write_b32 a202, 0                                // 0000000063F8: D3D940CA 18000080
	v_mov_b32_e32 v194, 0                                      // 000000006400: 7F840280
	v_accvgpr_write_b32 a203, 0                                // 000000006404: D3D940CB 18000080
	v_mov_b32_e32 v195, 0                                      // 00000000640C: 7F860280
	v_accvgpr_write_b32 a204, 0                                // 000000006410: D3D940CC 18000080
	v_mov_b32_e32 v196, 0                                      // 000000006418: 7F880280
	v_accvgpr_write_b32 a205, 0                                // 00000000641C: D3D940CD 18000080
	v_mov_b32_e32 v197, 0                                      // 000000006424: 7F8A0280
	v_accvgpr_write_b32 a206, 0                                // 000000006428: D3D940CE 18000080
	v_mov_b32_e32 v198, 0                                      // 000000006430: 7F8C0280
	v_accvgpr_write_b32 a207, 0                                // 000000006434: D3D940CF 18000080
	v_mov_b32_e32 v199, 0                                      // 00000000643C: 7F8E0280
	v_accvgpr_write_b32 a208, 0                                // 000000006440: D3D940D0 18000080
	v_mov_b32_e32 v200, 0                                      // 000000006448: 7F900280
	v_accvgpr_write_b32 a209, 0                                // 00000000644C: D3D940D1 18000080
	v_mov_b32_e32 v201, 0                                      // 000000006454: 7F920280
	v_accvgpr_write_b32 a210, 0                                // 000000006458: D3D940D2 18000080
	v_mov_b32_e32 v202, 0                                      // 000000006460: 7F940280
	v_accvgpr_write_b32 a211, 0                                // 000000006464: D3D940D3 18000080
	v_mov_b32_e32 v203, 0                                      // 00000000646C: 7F960280
	v_accvgpr_write_b32 a212, 0                                // 000000006470: D3D940D4 18000080
	v_mov_b32_e32 v204, 0                                      // 000000006478: 7F980280
	v_accvgpr_write_b32 a213, 0                                // 00000000647C: D3D940D5 18000080
	v_mov_b32_e32 v205, 0                                      // 000000006484: 7F9A0280
	v_accvgpr_write_b32 a214, 0                                // 000000006488: D3D940D6 18000080
	v_mov_b32_e32 v206, 0                                      // 000000006490: 7F9C0280
	v_accvgpr_write_b32 a215, 0                                // 000000006494: D3D940D7 18000080
	v_mov_b32_e32 v207, 0                                      // 00000000649C: 7F9E0280
	v_accvgpr_write_b32 a216, 0                                // 0000000064A0: D3D940D8 18000080
	v_mov_b32_e32 v208, 0                                      // 0000000064A8: 7FA00280
	v_accvgpr_write_b32 a217, 0                                // 0000000064AC: D3D940D9 18000080
	v_mov_b32_e32 v209, 0                                      // 0000000064B4: 7FA20280
	v_accvgpr_write_b32 a218, 0                                // 0000000064B8: D3D940DA 18000080
	v_mov_b32_e32 v210, 0                                      // 0000000064C0: 7FA40280
	v_accvgpr_write_b32 a219, 0                                // 0000000064C4: D3D940DB 18000080
	v_mov_b32_e32 v211, 0                                      // 0000000064CC: 7FA60280
	v_accvgpr_write_b32 a220, 0                                // 0000000064D0: D3D940DC 18000080
	v_mov_b32_e32 v212, 0                                      // 0000000064D8: 7FA80280
	v_accvgpr_write_b32 a221, 0                                // 0000000064DC: D3D940DD 18000080
	v_mov_b32_e32 v213, 0                                      // 0000000064E4: 7FAA0280
	v_accvgpr_write_b32 a222, 0                                // 0000000064E8: D3D940DE 18000080
	v_mov_b32_e32 v214, 0                                      // 0000000064F0: 7FAC0280
	v_accvgpr_write_b32 a223, 0                                // 0000000064F4: D3D940DF 18000080
	v_mov_b32_e32 v215, 0                                      // 0000000064FC: 7FAE0280
	v_accvgpr_write_b32 a224, 0                                // 000000006500: D3D940E0 18000080
	v_mov_b32_e32 v216, 0                                      // 000000006508: 7FB00280
	v_accvgpr_write_b32 a225, 0                                // 00000000650C: D3D940E1 18000080
	v_mov_b32_e32 v217, 0                                      // 000000006514: 7FB20280
	v_accvgpr_write_b32 a226, 0                                // 000000006518: D3D940E2 18000080
	v_mov_b32_e32 v218, 0                                      // 000000006520: 7FB40280
	v_accvgpr_write_b32 a227, 0                                // 000000006524: D3D940E3 18000080
	v_mov_b32_e32 v219, 0                                      // 00000000652C: 7FB60280
	v_accvgpr_write_b32 a228, 0                                // 000000006530: D3D940E4 18000080
	v_mov_b32_e32 v220, 0                                      // 000000006538: 7FB80280
	v_accvgpr_write_b32 a229, 0                                // 00000000653C: D3D940E5 18000080
	v_mov_b32_e32 v221, 0                                      // 000000006544: 7FBA0280
	v_accvgpr_write_b32 a230, 0                                // 000000006548: D3D940E6 18000080
	v_mov_b32_e32 v222, 0                                      // 000000006550: 7FBC0280
	v_accvgpr_write_b32 a231, 0                                // 000000006554: D3D940E7 18000080
	v_mov_b32_e32 v223, 0                                      // 00000000655C: 7FBE0280
	v_accvgpr_write_b32 a232, 0                                // 000000006560: D3D940E8 18000080
	v_mov_b32_e32 v224, 0                                      // 000000006568: 7FC00280
	v_accvgpr_write_b32 a233, 0                                // 00000000656C: D3D940E9 18000080
	v_mov_b32_e32 v225, 0                                      // 000000006574: 7FC20280
	v_accvgpr_write_b32 a234, 0                                // 000000006578: D3D940EA 18000080
	v_mov_b32_e32 v226, 0                                      // 000000006580: 7FC40280
	v_accvgpr_write_b32 a235, 0                                // 000000006584: D3D940EB 18000080
	v_mov_b32_e32 v227, 0                                      // 00000000658C: 7FC60280
	v_accvgpr_write_b32 a236, 0                                // 000000006590: D3D940EC 18000080
	v_mov_b32_e32 v228, 0                                      // 000000006598: 7FC80280
	v_accvgpr_write_b32 a237, 0                                // 00000000659C: D3D940ED 18000080
	v_mov_b32_e32 v229, 0                                      // 0000000065A4: 7FCA0280
	v_accvgpr_write_b32 a238, 0                                // 0000000065A8: D3D940EE 18000080
	v_mov_b32_e32 v230, 0                                      // 0000000065B0: 7FCC0280
	v_accvgpr_write_b32 a239, 0                                // 0000000065B4: D3D940EF 18000080
	v_mov_b32_e32 v231, 0                                      // 0000000065BC: 7FCE0280
	v_accvgpr_write_b32 a240, 0                                // 0000000065C0: D3D940F0 18000080
	v_mov_b32_e32 v232, 0                                      // 0000000065C8: 7FD00280
	v_accvgpr_write_b32 a241, 0                                // 0000000065CC: D3D940F1 18000080
	v_mov_b32_e32 v233, 0                                      // 0000000065D4: 7FD20280
	v_accvgpr_write_b32 a242, 0                                // 0000000065D8: D3D940F2 18000080
	v_mov_b32_e32 v234, 0                                      // 0000000065E0: 7FD40280
	v_accvgpr_write_b32 a243, 0                                // 0000000065E4: D3D940F3 18000080
	v_mov_b32_e32 v235, 0                                      // 0000000065EC: 7FD60280
	v_accvgpr_write_b32 a244, 0                                // 0000000065F0: D3D940F4 18000080
	v_mov_b32_e32 v236, 0                                      // 0000000065F8: 7FD80280
	v_accvgpr_write_b32 a245, 0                                // 0000000065FC: D3D940F5 18000080
	v_mov_b32_e32 v237, 0                                      // 000000006604: 7FDA0280
	v_accvgpr_write_b32 a246, 0                                // 000000006608: D3D940F6 18000080
	v_mov_b32_e32 v238, 0                                      // 000000006610: 7FDC0280
	v_accvgpr_write_b32 a247, 0                                // 000000006614: D3D940F7 18000080
	v_mov_b32_e32 v239, 0                                      // 00000000661C: 7FDE0280
	v_accvgpr_write_b32 a248, 0                                // 000000006620: D3D940F8 18000080
	v_mov_b32_e32 v240, 0                                      // 000000006628: 7FE00280
	v_accvgpr_write_b32 a249, 0                                // 00000000662C: D3D940F9 18000080
	v_mov_b32_e32 v241, 0                                      // 000000006634: 7FE20280
	v_accvgpr_write_b32 a250, 0                                // 000000006638: D3D940FA 18000080
	v_mov_b32_e32 v242, 0                                      // 000000006640: 7FE40280
	v_accvgpr_write_b32 a251, 0                                // 000000006644: D3D940FB 18000080
	v_mov_b32_e32 v243, 0                                      // 00000000664C: 7FE60280
	v_accvgpr_write_b32 a252, 0                                // 000000006650: D3D940FC 18000080
	v_mov_b32_e32 v244, 0                                      // 000000006658: 7FE80280
	v_accvgpr_write_b32 a253, 0                                // 00000000665C: D3D940FD 18000080
	v_mov_b32_e32 v245, 0                                      // 000000006664: 7FEA0280
	v_accvgpr_write_b32 a254, 0                                // 000000006668: D3D940FE 18000080
	v_mov_b32_e32 v246, 0                                      // 000000006670: 7FEC0280
	v_accvgpr_write_b32 a255, 0                                // 000000006674: D3D940FF 18000080
	v_mov_b32_e32 v247, 0                                      // 00000000667C: 7FEE0280
	v_mov_b32_e32 v136, 0                                      // 000000006680: 7F100280
	v_mov_b32_e32 v137, 0                                      // 000000006684: 7F120280
	v_mov_b32_e32 v138, 0                                      // 000000006688: 7F140280
	v_mov_b32_e32 v139, 0                                      // 00000000668C: 7F160280
	v_mov_b32_e32 v140, 0                                      // 000000006690: 7F180280
	v_mov_b32_e32 v141, 0                                      // 000000006694: 7F1A0280
	v_mov_b32_e32 v142, 0                                      // 000000006698: 7F1C0280
	v_mov_b32_e32 v143, 0                                      // 00000000669C: 7F1E0280
	v_mov_b32_e32 v128, 0                                      // 0000000066A0: 7F000280
	v_mov_b32_e32 v129, 0                                      // 0000000066A4: 7F020280
	v_mov_b32_e32 v130, 0                                      // 0000000066A8: 7F040280
	v_mov_b32_e32 v131, 0                                      // 0000000066AC: 7F060280
	v_mov_b32_e32 v132, 0                                      // 0000000066B0: 7F080280
	v_mov_b32_e32 v133, 0                                      // 0000000066B4: 7F0A0280
	v_mov_b32_e32 v134, 0                                      // 0000000066B8: 7F0C0280
	v_mov_b32_e32 v135, 0                                      // 0000000066BC: 7F0E0280
	s_waitcnt lgkmcnt(0)                                       // 0000000066C0: BF8CC07F
	s_barrier                                                  // 0000000066C4: BF8A0000
	v_mov_b32_e32 v32, 0                                       // 0000000066C8: 7E400280
	s_mov_b64 exec, s[82:83]                                   // 0000000066CC: BEFE0152
	buffer_load_dword v32, v1, s[8:11], 0 idxen                // 0000000066D0: E0502000 80022001
	s_mov_b32 exec_lo, -1                                      // 0000000066D8: BEFE00C1
	s_mov_b32 exec_hi, -1                                      // 0000000066DC: BEFF00C1
	v_mov_b32_e32 v33, 0                                       // 0000000066E0: 7E420280
	s_mov_b64 exec, s[82:83]                                   // 0000000066E4: BEFE0152
	buffer_load_dword v33, v2, s[8:11], 0 idxen                // 0000000066E8: E0502000 80022102
	s_mov_b32 exec_lo, -1                                      // 0000000066F0: BEFE00C1
	s_mov_b32 exec_hi, -1                                      // 0000000066F4: BEFF00C1
	v_mov_b32_e32 v34, 0                                       // 0000000066F8: 7E440280
	s_mov_b64 exec, s[82:83]                                   // 0000000066FC: BEFE0152
	buffer_load_dword v34, v3, s[8:11], 0 idxen                // 000000006700: E0502000 80022203
	s_mov_b32 exec_lo, -1                                      // 000000006708: BEFE00C1
	s_mov_b32 exec_hi, -1                                      // 00000000670C: BEFF00C1
	v_mov_b32_e32 v35, 0                                       // 000000006710: 7E460280
	s_mov_b64 exec, s[82:83]                                   // 000000006714: BEFE0152
	buffer_load_dword v35, v4, s[8:11], 0 idxen                // 000000006718: E0502000 80022304
	s_mov_b32 exec_lo, -1                                      // 000000006720: BEFE00C1
	s_mov_b32 exec_hi, -1                                      // 000000006724: BEFF00C1
	v_mov_b32_e32 v40, 0                                       // 000000006728: 7E500280
	s_mov_b64 exec, s[82:83]                                   // 00000000672C: BEFE0152
	buffer_load_dword v40, v252, s[20:23], 0 idxen             // 000000006730: E0502000 800528FC
	s_mov_b32 exec_lo, -1                                      // 000000006738: BEFE00C1
	s_mov_b32 exec_hi, -1                                      // 00000000673C: BEFF00C1
	v_mov_b32_e32 v41, 0                                       // 000000006740: 7E520280
	s_mov_b64 exec, s[82:83]                                   // 000000006744: BEFE0152
	buffer_load_dword v41, v253, s[20:23], 0 idxen             // 000000006748: E0502000 800529FD
	s_mov_b32 exec_lo, -1                                      // 000000006750: BEFE00C1
	s_mov_b32 exec_hi, -1                                      // 000000006754: BEFF00C1
	v_mov_b32_e32 v42, 0                                       // 000000006758: 7E540280
	s_mov_b64 exec, s[82:83]                                   // 00000000675C: BEFE0152
	buffer_load_dword v42, v254, s[20:23], 0 idxen             // 000000006760: E0502000 80052AFE
	s_mov_b32 exec_lo, -1                                      // 000000006768: BEFE00C1
	s_mov_b32 exec_hi, -1                                      // 00000000676C: BEFF00C1
	v_mov_b32_e32 v43, 0                                       // 000000006770: 7E560280
	s_mov_b64 exec, s[82:83]                                   // 000000006774: BEFE0152
	buffer_load_dword v43, v255, s[20:23], 0 idxen             // 000000006778: E0502000 80052BFF
	s_mov_b32 exec_lo, -1                                      // 000000006780: BEFE00C1
	s_mov_b32 exec_hi, -1                                      // 000000006784: BEFF00C1
	buffer_load_dword v9, s[24:27], 0 idxen lds                // 000000006788: E0512000 80060009
	s_mov_b32 m0, s81                                          // 000000006790: BEFC0051
	v_add_u32_e32 v9, s69, v9                                  // 000000006794: 68121245
	v_add_u32_e32 v1, s68, v1                                  // 000000006798: 68020244
	v_add_u32_e32 v2, s68, v2                                  // 00000000679C: 68040444
	v_add_u32_e32 v3, s68, v3                                  // 0000000067A0: 68060644
	v_add_u32_e32 v4, s68, v4                                  // 0000000067A4: 68080844
	v_add_u32_e32 v252, s100, v252                             // 0000000067A8: 69F9F864
	v_add_u32_e32 v253, s100, v253                             // 0000000067AC: 69FBFA64
	v_add_u32_e32 v254, s100, v254                             // 0000000067B0: 69FDFC64
	v_add_u32_e32 v255, s100, v255                             // 0000000067B4: 69FFFE64
	v_mul_f32_e32 v124, s48, v124                              // 0000000067B8: 0AF8F830
	v_perm_b32 v84, v37, v36, s63                              // 0000000067BC: D1ED0054 00FE4925
	v_perm_b32 v85, v37, v36, s64                              // 0000000067C4: D1ED0055 01024925
	v_perm_b32 v86, v39, v38, s63                              // 0000000067CC: D1ED0056 00FE4D27
	v_perm_b32 v87, v39, v38, s64                              // 0000000067D4: D1ED0057 01024D27
	v_perm_b32 v88, v45, v44, s63                              // 0000000067DC: D1ED0058 00FE592D
	v_perm_b32 v89, v45, v44, s64                              // 0000000067E4: D1ED0059 0102592D
	v_perm_b32 v90, v47, v46, s63                              // 0000000067EC: D1ED005A 00FE5D2F
	v_perm_b32 v91, v47, v46, s64                              // 0000000067F4: D1ED005B 01025D2F
	v_mov_b32_dpp v127, v124 quad_perm:[3,3,3,3] row_mask:0xf bank_mask:0xf// 0000000067FC: 7EFE02FA FF00FF7C
	v_mov_b32_dpp v126, v124 quad_perm:[2,2,2,2] row_mask:0xf bank_mask:0xf// 000000006804: 7EFC02FA FF00AA7C
	v_mov_b32_dpp v125, v124 quad_perm:[1,1,1,1] row_mask:0xf bank_mask:0xf// 00000000680C: 7EFA02FA FF00557C
	v_mov_b32_dpp v124, v124 quad_perm:[0,0,0,0] row_mask:0xf bank_mask:0xf// 000000006814: 7EF802FA FF00007C
	s_waitcnt vmcnt(9)                                         // 00000000681C: BF8C0F79
	s_barrier                                                  // 000000006820: BF8A0000
	s_cmp_lt_i32 s46, 2                                        // 000000006824: BF04822E
	s_cbranch_scc0 label_1079                                  // 000000006828: BF8405E4
	s_nop 0                                                    // 00000000682C: BF800000
	s_nop 0                                                    // 000000006830: BF800000

0000000000006834 <label_0A8D>:
	s_waitcnt lgkmcnt(0)                                       // 000000006834: BF8CC07F
	s_barrier                                                  // 000000006838: BF8A0000
	v_mfma_f32_16x16x16_bf16 v[48:51], a[144:145], a[0:1], 0   // 00000000683C: D3E10030 1A020190
	ds_write_b32 v11, v44 offset:8704                          // 000000006844: D81A2200 00002C0B
	ds_write_b32 v11, v45 offset:9760                          // 00000000684C: D81A2620 00002D0B
	v_mfma_f32_16x16x16_bf16 v[48:51], a[146:147], a[2:3], v[48:51]// 000000006854: D3E10030 1CC20592
	v_mul_f32_e32 v128, s47, v128                              // 00000000685C: 0B01002F
	v_mul_f32_e32 v129, s47, v129                              // 000000006860: 0B03022F
	v_mfma_f32_16x16x16_bf16 v[48:51], a[148:149], a[4:5], v[48:51]// 000000006864: D3E10030 1CC20994
	ds_write_b32 v11, v46 offset:8832                          // 00000000686C: D81A2280 00002E0B
	ds_write_b32 v11, v47 offset:9888                          // 000000006874: D81A26A0 00002F0B
	v_mfma_f32_16x16x16_bf16 v[48:51], a[150:151], a[6:7], v[48:51]// 00000000687C: D3E10030 1CC20D96
	v_mul_f32_e32 v130, s47, v130                              // 000000006884: 0B05042F
	v_mul_f32_e32 v131, s47, v131                              // 000000006888: 0B07062F
	v_mfma_f32_16x16x16_bf16 v[48:51], a[152:153], a[8:9], v[48:51]// 00000000688C: D3E10030 1CC21198
	ds_write_b64 v20, v[128:129] offset:24320                  // 000000006894: D89A5F00 00008014
	v_mfma_f32_16x16x16_bf16 v[48:51], a[154:155], a[10:11], v[48:51]// 00000000689C: D3E10030 1CC2159A
	v_mul_f32_e32 v132, s47, v132                              // 0000000068A4: 0B09082F
	v_mul_f32_e32 v133, s47, v133                              // 0000000068A8: 0B0B0A2F
	v_mfma_f32_16x16x16_bf16 v[48:51], a[156:157], a[12:13], v[48:51]// 0000000068AC: D3E10030 1CC2199C
	ds_write_b64 v20, v[130:131] offset:24832                  // 0000000068B4: D89A6100 00008214
	v_mfma_f32_16x16x16_bf16 v[48:51], a[158:159], a[14:15], v[48:51]// 0000000068BC: D3E10030 1CC21D9E
	v_mul_f32_e32 v134, s47, v134                              // 0000000068C4: 0B0D0C2F
	v_mul_f32_e32 v135, s47, v135                              // 0000000068C8: 0B0F0E2F
	v_mfma_f32_16x16x16_bf16 v[52:55], a[144:145], a[16:17], 0 // 0000000068CC: D3E10034 1A022190
	ds_write_b64 v20, v[132:133] offset:25344                  // 0000000068D4: D89A6300 00008414
	v_mfma_f32_16x16x16_bf16 v[52:55], a[146:147], a[18:19], v[52:55]// 0000000068DC: D3E10034 1CD22592
	buffer_atomic_add_f32 v140, v7, s[32:35], 0 offen offset:256// 0000000068E4: E1341100 80088C07
	v_mfma_f32_16x16x16_bf16 v[52:55], a[148:149], a[20:21], v[52:55]// 0000000068EC: D3E10034 1CD22994
	ds_write_b64 v20, v[134:135] offset:25856                  // 0000000068F4: D89A6500 00008614
	v_mfma_f32_16x16x16_bf16 v[52:55], a[150:151], a[22:23], v[52:55]// 0000000068FC: D3E10034 1CD22D96
	v_mfma_f32_16x16x16_bf16 v[52:55], a[152:153], a[24:25], v[52:55]// 000000006904: D3E10034 1CD23198
	ds_read_b128 v[108:111], v12 offset:13056                  // 00000000690C: D9FE3300 6C00000C
	ds_write_b32 v11, v36                                      // 000000006914: D81A0000 0000240B
	v_mfma_f32_16x16x16_bf16 v[52:55], a[154:155], a[26:27], v[52:55]// 00000000691C: D3E10034 1CD2359A
	buffer_atomic_add_f32 v141, v8, s[32:35], 0 offen offset:256// 000000006924: E1341100 80088D08
	v_mfma_f32_16x16x16_bf16 v[52:55], a[156:157], a[28:29], v[52:55]// 00000000692C: D3E10034 1CD2399C
	v_mfma_f32_16x16x16_bf16 v[52:55], a[158:159], a[30:31], v[52:55]// 000000006934: D3E10034 1CD23D9E
	ds_read_b128 v[112:115], v12 offset:13568                  // 00000000693C: D9FE3500 7000000C
	ds_write_b32 v11, v37 offset:1056                          // 000000006944: D81A0420 0000250B
	v_mfma_f32_16x16x16_bf16 v[56:59], a[144:145], a[32:33], 0 // 00000000694C: D3E10038 1A024190
	buffer_atomic_add_f32 v142, v7, s[32:35], 0 offen offset:384// 000000006954: E1341180 80088E07
	v_mfma_f32_16x16x16_bf16 v[56:59], a[146:147], a[34:35], v[56:59]// 00000000695C: D3E10038 1CE24592
	v_mfma_f32_16x16x16_bf16 v[56:59], a[148:149], a[36:37], v[56:59]// 000000006964: D3E10038 1CE24994
	ds_read_b128 v[116:119], v12 offset:15232                  // 00000000696C: D9FE3B80 7400000C
	ds_write_b32 v11, v38 offset:128                           // 000000006974: D81A0080 0000260B
	v_mfma_f32_16x16x16_bf16 v[56:59], a[150:151], a[38:39], v[56:59]// 00000000697C: D3E10038 1CE24D96
	v_mfma_f32_16x16x16_bf16 v[56:59], a[152:153], a[40:41], v[56:59]// 000000006984: D3E10038 1CE25198
	buffer_atomic_add_f32 v143, v8, s[32:35], 0 offen offset:384// 00000000698C: E1341180 80088F08
	v_mfma_f32_16x16x16_bf16 v[56:59], a[154:155], a[42:43], v[56:59]// 000000006994: D3E10038 1CE2559A
	ds_read_b128 v[120:123], v12 offset:15744                  // 00000000699C: D9FE3D80 7800000C
	ds_write_b32 v11, v39 offset:1184                          // 0000000069A4: D81A04A0 0000270B
	v_mfma_f32_16x16x16_bf16 v[56:59], a[156:157], a[44:45], v[56:59]// 0000000069AC: D3E10038 1CE2599C
	v_mfma_f32_16x16x16_bf16 v[56:59], a[158:159], a[46:47], v[56:59]// 0000000069B4: D3E10038 1CE25D9E
	s_cmp_eq_i32 s88, 0                                        // 0000000069BC: BF008058
	s_cbranch_scc1 label_0B85                                  // 0000000069C0: BF85008F
	s_cmp_lt_i32 s74, 12                                       // 0000000069C4: BF048C4A
	s_cbranch_scc0 label_0B30                                  // 0000000069C8: BF84003D
	s_lshl_b32 s60, s74, 4                                     // 0000000069CC: 8E3C844A
	v_sub_i32 v28, v25, s60                                    // 0000000069D0: D29D001C 00007919
	s_mov_b32 s61, 0                                           // 0000000069D8: BEBD0080
	v_add_i32 v29, v28, s61                                    // 0000000069DC: D29C001D 00007B1C
	v_cmp_gt_i32_e64 s[60:61], v29, 0                          // 0000000069E4: D0C4003C 0001011D
	v_cmp_gt_i32_e64 s[70:71], v29, 1                          // 0000000069EC: D0C40046 0001031D
	v_cndmask_b32_e64 v48, v48, v151, s[60:61]                 // 0000000069F4: D1000030 00F32F30
	v_cndmask_b32_e64 v49, v49, v151, s[70:71]                 // 0000000069FC: D1000031 011B2F31
	v_cmp_gt_i32_e64 s[60:61], v29, 2                          // 000000006A04: D0C4003C 0001051D
	v_cmp_gt_i32_e64 s[70:71], v29, 3                          // 000000006A0C: D0C40046 0001071D
	v_cndmask_b32_e64 v50, v50, v151, s[60:61]                 // 000000006A14: D1000032 00F32F32
	v_cndmask_b32_e64 v51, v51, v151, s[70:71]                 // 000000006A1C: D1000033 011B2F33
	s_mov_b32 s61, 64                                          // 000000006A24: BEBD00C0
	v_add_i32 v29, v28, s61                                    // 000000006A28: D29C001D 00007B1C
	v_cmp_gt_i32_e64 s[60:61], v29, 0                          // 000000006A30: D0C4003C 0001011D
	v_cmp_gt_i32_e64 s[70:71], v29, 1                          // 000000006A38: D0C40046 0001031D
	v_cndmask_b32_e64 v52, v52, v151, s[60:61]                 // 000000006A40: D1000034 00F32F34
	v_cndmask_b32_e64 v53, v53, v151, s[70:71]                 // 000000006A48: D1000035 011B2F35
	v_cmp_gt_i32_e64 s[60:61], v29, 2                          // 000000006A50: D0C4003C 0001051D
	v_cmp_gt_i32_e64 s[70:71], v29, 3                          // 000000006A58: D0C40046 0001071D
	v_cndmask_b32_e64 v54, v54, v151, s[60:61]                 // 000000006A60: D1000036 00F32F36
	v_cndmask_b32_e64 v55, v55, v151, s[70:71]                 // 000000006A68: D1000037 011B2F37
	s_mov_b32 s61, 0x80                                        // 000000006A70: BEBD00FF 00000080
	v_add_i32 v29, v28, s61                                    // 000000006A78: D29C001D 00007B1C
	v_cmp_gt_i32_e64 s[60:61], v29, 0                          // 000000006A80: D0C4003C 0001011D
	v_cmp_gt_i32_e64 s[70:71], v29, 1                          // 000000006A88: D0C40046 0001031D
	v_cndmask_b32_e64 v56, v56, v151, s[60:61]                 // 000000006A90: D1000038 00F32F38
	v_cndmask_b32_e64 v57, v57, v151, s[70:71]                 // 000000006A98: D1000039 011B2F39
	v_cmp_gt_i32_e64 s[60:61], v29, 2                          // 000000006AA0: D0C4003C 0001051D
	v_cmp_gt_i32_e64 s[70:71], v29, 3                          // 000000006AA8: D0C40046 0001071D
	v_cndmask_b32_e64 v58, v58, v151, s[60:61]                 // 000000006AB0: D100003A 00F32F3A
	v_cndmask_b32_e64 v59, v59, v151, s[70:71]                 // 000000006AB8: D100003B 011B2F3B

0000000000006ac0 <label_0B30>:
	s_cmp_lt_i32 s84, 0xc0                                     // 000000006AC0: BF04FF54 000000C0
	s_cbranch_scc0 label_0B85                                  // 000000006AC8: BF84004D
	s_cmp_le_i32 s84, 64                                       // 000000006ACC: BF05C054
	s_cbranch_scc1 label_0B3C                                  // 000000006AD0: BF850007
	s_cmp_le_i32 s84, 0x80                                     // 000000006AD4: BF05FF54 00000080
	s_cbranch_scc1 label_0B54                                  // 000000006ADC: BF850017
	s_cmp_lt_i32 s84, 0xc0                                     // 000000006AE0: BF04FF54 000000C0
	s_cbranch_scc1 label_0B6C                                  // 000000006AE8: BF85002C
	s_branch label_0B85                                        // 000000006AEC: BF820044

0000000000006af0 <label_0B3C>:
	s_mov_b32 s60, 0                                           // 000000006AF0: BEBC0080
	v_and_b32_e32 v28, 15, v0                                  // 000000006AF4: 2638008F
	v_add_u32_e64 v28, v28, s60                                // 000000006AF8: D134001C 0000791C
	v_mul_i32_i24_e64 v29, s46, 16                             // 000000006B00: D106001D 0001202E
	v_add_u32_e32 v28, v28, v29                                // 000000006B08: 68383B1C
	v_cmp_lt_u32_e64 s[60:61], v28, s84                        // 000000006B0C: D0C9003C 0000A91C
	s_nop 1                                                    // 000000006B14: BF800001
	v_cndmask_b32_e64 v48, v151, v48, s[60:61]                 // 000000006B18: D1000030 00F26197
	v_cndmask_b32_e64 v49, v151, v49, s[60:61]                 // 000000006B20: D1000031 00F26397
	v_cndmask_b32_e64 v50, v151, v50, s[60:61]                 // 000000006B28: D1000032 00F26597
	v_cndmask_b32_e64 v51, v151, v51, s[60:61]                 // 000000006B30: D1000033 00F26797
	s_branch label_0B67                                        // 000000006B38: BF820013

0000000000006b3c <label_0B54>:
	s_mov_b32 s60, 64                                          // 000000006B3C: BEBC00C0
	v_and_b32_e32 v28, 15, v0                                  // 000000006B40: 2638008F
	v_add_u32_e64 v28, v28, s60                                // 000000006B44: D134001C 0000791C
	v_mul_i32_i24_e64 v29, s46, 16                             // 000000006B4C: D106001D 0001202E
	v_add_u32_e32 v28, v28, v29                                // 000000006B54: 68383B1C
	v_cmp_lt_u32_e64 s[60:61], v28, s84                        // 000000006B58: D0C9003C 0000A91C
	s_nop 1                                                    // 000000006B60: BF800001
	v_cndmask_b32_e64 v52, v151, v52, s[60:61]                 // 000000006B64: D1000034 00F26997
	v_cndmask_b32_e64 v53, v151, v53, s[60:61]                 // 000000006B6C: D1000035 00F26B97
	v_cndmask_b32_e64 v54, v151, v54, s[60:61]                 // 000000006B74: D1000036 00F26D97
	v_cndmask_b32_e64 v55, v151, v55, s[60:61]                 // 000000006B7C: D1000037 00F26F97
	s_branch label_0B80                                        // 000000006B84: BF820019

0000000000006b88 <label_0B67>:
	v_mov_b32_e32 v52, v151                                    // 000000006B88: 7E680397
	v_mov_b32_e32 v53, v151                                    // 000000006B8C: 7E6A0397
	v_mov_b32_e32 v54, v151                                    // 000000006B90: 7E6C0397
	v_mov_b32_e32 v55, v151                                    // 000000006B94: 7E6E0397
	s_branch label_0B80                                        // 000000006B98: BF820014

0000000000006b9c <label_0B6C>:
	s_mov_b32 s60, 0x80                                        // 000000006B9C: BEBC00FF 00000080
	v_and_b32_e32 v28, 15, v0                                  // 000000006BA4: 2638008F
	v_add_u32_e64 v28, v28, s60                                // 000000006BA8: D134001C 0000791C
	v_mul_i32_i24_e64 v29, s46, 16                             // 000000006BB0: D106001D 0001202E
	v_add_u32_e32 v28, v28, v29                                // 000000006BB8: 68383B1C
	v_cmp_lt_u32_e64 s[60:61], v28, s84                        // 000000006BBC: D0C9003C 0000A91C
	s_nop 1                                                    // 000000006BC4: BF800001
	v_cndmask_b32_e64 v56, v151, v56, s[60:61]                 // 000000006BC8: D1000038 00F27197
	v_cndmask_b32_e64 v57, v151, v57, s[60:61]                 // 000000006BD0: D1000039 00F27397
	v_cndmask_b32_e64 v58, v151, v58, s[60:61]                 // 000000006BD8: D100003A 00F27597
	v_cndmask_b32_e64 v59, v151, v59, s[60:61]                 // 000000006BE0: D100003B 00F27797
	s_branch label_0B85                                        // 000000006BE8: BF820005

0000000000006bec <label_0B80>:
	v_mov_b32_e32 v56, v151                                    // 000000006BEC: 7E700397
	v_mov_b32_e32 v57, v151                                    // 000000006BF0: 7E720397
	v_mov_b32_e32 v58, v151                                    // 000000006BF4: 7E740397
	v_mov_b32_e32 v59, v151                                    // 000000006BF8: 7E760397
	s_branch label_0B85                                        // 000000006BFC: BF820000

0000000000006c00 <label_0B85>:
	s_addk_i32 s74, 0x1                                        // 000000006C00: B74A0001
	s_waitcnt lgkmcnt(8)                                       // 000000006C04: BF8CC87F
	s_barrier                                                  // 000000006C08: BF8A0000
	v_mfma_f32_16x16x16_bf16 v[72:75], v[92:93], a[96:97], 0   // 000000006C0C: D3E10048 1202C15C
	ds_read_b128 a[144:147], v12 offset:4352                   // 000000006C14: DBFE1100 9000000C
	ds_read_b128 a[148:151], v12 offset:4864                   // 000000006C1C: DBFE1300 9400000C
	v_mfma_f32_16x16x16_bf16 v[72:75], v[94:95], a[98:99], v[72:75]// 000000006C24: D3E10048 1522C55E
	v_fma_f32 v48, v48, s57, -v124                             // 000000006C2C: D1CB0030 85F07330
	v_fma_f32 v49, v49, s57, -v125                             // 000000006C34: D1CB0031 85F47331
	v_fma_f32 v50, v50, s57, -v126                             // 000000006C3C: D1CB0032 85F87332
	v_mfma_f32_16x16x16_bf16 v[72:75], v[96:97], a[100:101], v[72:75]// 000000006C44: D3E10048 1522C960
	v_fma_f32 v51, v51, s57, -v127                             // 000000006C4C: D1CB0033 85FC7333
	v_fma_f32 v52, v52, s57, -v124                             // 000000006C54: D1CB0034 85F07334
	v_fma_f32 v53, v53, s57, -v125                             // 000000006C5C: D1CB0035 85F47335
	v_mfma_f32_16x16x16_bf16 v[72:75], v[98:99], a[102:103], v[72:75]// 000000006C64: D3E10048 1522CD62
	v_fma_f32 v54, v54, s57, -v126                             // 000000006C6C: D1CB0036 85F87336
	v_fma_f32 v55, v55, s57, -v127                             // 000000006C74: D1CB0037 85FC7337
	v_fma_f32 v56, v56, s57, -v124                             // 000000006C7C: D1CB0038 85F07338
	v_mfma_f32_16x16x16_bf16 v[72:75], v[100:101], a[104:105], v[72:75]// 000000006C84: D3E10048 1522D164
	ds_read_b128 a[152:155], v12 offset:6528                   // 000000006C8C: DBFE1980 9800000C
	ds_read_b128 a[156:159], v12 offset:7040                   // 000000006C94: DBFE1B80 9C00000C
	v_mfma_f32_16x16x16_bf16 v[72:75], v[102:103], a[106:107], v[72:75]// 000000006C9C: D3E10048 1522D566
	v_fma_f32 v57, v57, s57, -v125                             // 000000006CA4: D1CB0039 85F47339
	v_fma_f32 v58, v58, s57, -v126                             // 000000006CAC: D1CB003A 85F8733A
	v_fma_f32 v59, v59, s57, -v127                             // 000000006CB4: D1CB003B 85FC733B
	v_mfma_f32_16x16x16_bf16 v[72:75], v[104:105], a[108:109], v[72:75]// 000000006CBC: D3E10048 1522D968
	v_exp_f32_e32 v48, v48                                     // 000000006CC4: 7E604130
	v_mfma_f32_16x16x16_bf16 v[72:75], v[106:107], a[110:111], v[72:75]// 000000006CC8: D3E10048 1522DD6A
	v_exp_f32_e32 v49, v49                                     // 000000006CD0: 7E624131
	v_mfma_f32_16x16x16_bf16 v[76:79], v[92:93], a[112:113], 0 // 000000006CD4: D3E1004C 1202E15C
	ds_read_b64 v[136:137], v19 offset:24320                   // 000000006CDC: D8EC5F00 88000013
	ds_read_b64 v[138:139], v19 offset:26368                   // 000000006CE4: D8EC6700 8A000013
	v_mfma_f32_16x16x16_bf16 v[76:79], v[94:95], a[114:115], v[76:79]// 000000006CEC: D3E1004C 1532E55E
	v_exp_f32_e32 v50, v50                                     // 000000006CF4: 7E644132
	v_mfma_f32_16x16x16_bf16 v[76:79], v[96:97], a[116:117], v[76:79]// 000000006CF8: D3E1004C 1532E960
	ds_read_b64 v[140:141], v19 offset:28416                   // 000000006D00: D8EC6F00 8C000013
	ds_read_b64 v[142:143], v19 offset:30464                   // 000000006D08: D8EC7700 8E000013
	v_mfma_f32_16x16x16_bf16 v[76:79], v[98:99], a[118:119], v[76:79]// 000000006D10: D3E1004C 1532ED62
	v_exp_f32_e32 v51, v51                                     // 000000006D18: 7E664133
	v_mfma_f32_16x16x16_bf16 v[76:79], v[100:101], a[120:121], v[76:79]// 000000006D1C: D3E1004C 1532F164
	v_exp_f32_e32 v52, v52                                     // 000000006D24: 7E684134
	v_mfma_f32_16x16x16_bf16 v[76:79], v[102:103], a[122:123], v[76:79]// 000000006D28: D3E1004C 1532F566
	v_exp_f32_e32 v53, v53                                     // 000000006D30: 7E6A4135
	v_mfma_f32_16x16x16_bf16 v[76:79], v[104:105], a[124:125], v[76:79]// 000000006D34: D3E1004C 1532F968
	v_exp_f32_e32 v54, v54                                     // 000000006D3C: 7E6C4136
	v_mfma_f32_16x16x16_bf16 v[76:79], v[106:107], a[126:127], v[76:79]// 000000006D40: D3E1004C 1532FD6A
	v_exp_f32_e32 v55, v55                                     // 000000006D48: 7E6E4137
	v_mfma_f32_16x16x16_bf16 v[80:83], v[92:93], a[128:129], 0 // 000000006D4C: D3E10050 1203015C
	v_exp_f32_e32 v56, v56                                     // 000000006D54: 7E704138
	v_mfma_f32_16x16x16_bf16 v[80:83], v[94:95], a[130:131], v[80:83]// 000000006D58: D3E10050 1543055E
	v_exp_f32_e32 v57, v57                                     // 000000006D60: 7E724139
	v_mfma_f32_16x16x16_bf16 v[80:83], v[96:97], a[132:133], v[80:83]// 000000006D64: D3E10050 15430960
	v_exp_f32_e32 v58, v58                                     // 000000006D6C: 7E74413A
	v_mfma_f32_16x16x16_bf16 v[80:83], v[98:99], a[134:135], v[80:83]// 000000006D70: D3E10050 15430D62
	v_exp_f32_e32 v59, v59                                     // 000000006D78: 7E76413B
	v_mfma_f32_16x16x16_bf16 v[80:83], v[100:101], a[136:137], v[80:83]// 000000006D7C: D3E10050 15431164
	v_perm_b32 v144, v49, v48, s64                             // 000000006D84: D1ED0090 01026131
	v_perm_b32 v145, v51, v50, s64                             // 000000006D8C: D1ED0091 01026533
	v_perm_b32 v146, v53, v52, s64                             // 000000006D94: D1ED0092 01026935
	v_mfma_f32_16x16x16_bf16 v[80:83], v[102:103], a[138:139], v[80:83]// 000000006D9C: D3E10050 15431566
	v_perm_b32 v147, v55, v54, s64                             // 000000006DA4: D1ED0093 01026D37
	v_perm_b32 v148, v57, v56, s64                             // 000000006DAC: D1ED0094 01027139
	v_perm_b32 v149, v59, v58, s64                             // 000000006DB4: D1ED0095 0102753B
	v_mfma_f32_16x16x16_bf16 v[80:83], v[104:105], a[140:141], v[80:83]// 000000006DBC: D3E10050 15431968
	v_add_u32_e32 v7, s66, v7                                  // 000000006DC4: 680E0E42
	v_add_u32_e32 v8, s66, v8                                  // 000000006DC8: 68101042
	v_mfma_f32_16x16x16_bf16 v[80:83], v[106:107], a[142:143], v[80:83]// 000000006DCC: D3E10050 15431D6A
	s_waitcnt lgkmcnt(0)                                       // 000000006DD4: BF8CC07F
	s_barrier                                                  // 000000006DD8: BF8A0000
	v_mfma_f32_16x16x16_bf16 v[152:155], v[108:109], v[144:145], v[152:155]// 000000006DDC: D3E10098 0663216C
	v_subrev_f32_dpp v72, v150, v72 quad_perm:[0,0,0,0] row_mask:0xf bank_mask:0xf// 000000006DE4: 069090FA FF000096
	v_subrev_f32_dpp v73, v150, v73 quad_perm:[1,1,1,1] row_mask:0xf bank_mask:0xf// 000000006DEC: 069292FA FF005596
	v_subrev_f32_dpp v74, v150, v74 quad_perm:[2,2,2,2] row_mask:0xf bank_mask:0xf// 000000006DF4: 069494FA FF00AA96
	v_mfma_f32_16x16x16_bf16 v[156:159], v[110:111], v[144:145], v[156:159]// 000000006DFC: D3E1009C 0673216E
	v_subrev_f32_dpp v75, v150, v75 quad_perm:[3,3,3,3] row_mask:0xf bank_mask:0xf// 000000006E04: 069696FA FF00FF96
	v_subrev_f32_dpp v76, v150, v76 quad_perm:[0,0,0,0] row_mask:0xf bank_mask:0xf// 000000006E0C: 069898FA FF000096
	v_subrev_f32_dpp v77, v150, v77 quad_perm:[1,1,1,1] row_mask:0xf bank_mask:0xf// 000000006E14: 069A9AFA FF005596
	v_mfma_f32_16x16x16_bf16 v[160:163], v[112:113], v[144:145], v[160:163]// 000000006E1C: D3E100A0 06832170
	v_mul_f32_e32 v72, v48, v72                                // 000000006E24: 0A909130
	v_mul_f32_e32 v73, v49, v73                                // 000000006E28: 0A929331
	v_mul_f32_e32 v74, v50, v74                                // 000000006E2C: 0A949532
	v_mfma_f32_16x16x16_bf16 v[164:167], v[114:115], v[144:145], v[164:167]// 000000006E30: D3E100A4 06932172
	v_mul_f32_e32 v75, v51, v75                                // 000000006E38: 0A969733
	v_mul_f32_e32 v76, v52, v76                                // 000000006E3C: 0A989934
	v_mul_f32_e32 v77, v53, v77                                // 000000006E40: 0A9A9B35
	v_mfma_f32_16x16x16_bf16 v[168:171], v[116:117], v[144:145], v[168:171]// 000000006E44: D3E100A8 06A32174
	v_perm_b32 v72, v73, v72, s64                              // 000000006E4C: D1ED0048 01029149
	v_perm_b32 v73, v75, v74, s64                              // 000000006E54: D1ED0049 0102954B
	v_perm_b32 v74, v77, v76, s64                              // 000000006E5C: D1ED004A 0102994D
	v_mfma_f32_16x16x16_bf16 v[172:175], v[118:119], v[144:145], v[172:175]// 000000006E64: D3E100AC 06B32176
	v_mov_b32_dpp v16, v72 quad_perm:[1,0,3,2] row_mask:0xf bank_mask:0xf// 000000006E6C: 7E2002FA FF00B148
	v_perm_b32 v48, v16, v72, v15                              // 000000006E74: D1ED0030 043E9110
	v_mov_b32_dpp v16, v73 quad_perm:[1,0,3,2] row_mask:0xf bank_mask:0xf// 000000006E7C: 7E2002FA FF00B149
	v_mfma_f32_16x16x16_bf16 v[176:179], v[120:121], v[144:145], v[176:179]// 000000006E84: D3E100B0 06C32178
	v_perm_b32 v49, v16, v73, v15                              // 000000006E8C: D1ED0031 043E9310
	v_mov_b32_dpp v16, v74 quad_perm:[1,0,3,2] row_mask:0xf bank_mask:0xf// 000000006E94: 7E2002FA FF00B14A
	v_perm_b32 v50, v16, v74, v15                              // 000000006E9C: D1ED0032 043E9510
	v_mfma_f32_16x16x16_bf16 v[180:183], v[122:123], v[144:145], v[180:183]// 000000006EA4: D3E100B4 06D3217A
	ds_write_b32 v18, v48 offset:17408                         // 000000006EAC: D81A4400 00003012
	v_mfma_f32_16x16x16_bf16 v[184:187], v[108:109], v[146:147], v[184:187]// 000000006EB4: D3E100B8 06E3256C
	v_subrev_f32_dpp v78, v150, v78 quad_perm:[2,2,2,2] row_mask:0xf bank_mask:0xf// 000000006EBC: 069C9CFA FF00AA96
	v_subrev_f32_dpp v79, v150, v79 quad_perm:[3,3,3,3] row_mask:0xf bank_mask:0xf// 000000006EC4: 069E9EFA FF00FF96
	v_subrev_f32_dpp v80, v150, v80 quad_perm:[0,0,0,0] row_mask:0xf bank_mask:0xf// 000000006ECC: 06A0A0FA FF000096
	v_mfma_f32_16x16x16_bf16 v[188:191], v[110:111], v[146:147], v[188:191]// 000000006ED4: D3E100BC 06F3256E
	ds_write_b32 v18, v49 offset:17952                         // 000000006EDC: D81A4620 00003112
	v_mfma_f32_16x16x16_bf16 v[192:195], v[112:113], v[146:147], v[192:195]// 000000006EE4: D3E100C0 07032570
	v_subrev_f32_dpp v81, v150, v81 quad_perm:[1,1,1,1] row_mask:0xf bank_mask:0xf// 000000006EEC: 06A2A2FA FF005596
	v_subrev_f32_dpp v82, v150, v82 quad_perm:[2,2,2,2] row_mask:0xf bank_mask:0xf// 000000006EF4: 06A4A4FA FF00AA96
	v_subrev_f32_dpp v83, v150, v83 quad_perm:[3,3,3,3] row_mask:0xf bank_mask:0xf// 000000006EFC: 06A6A6FA FF00FF96
	v_mfma_f32_16x16x16_bf16 v[196:199], v[114:115], v[146:147], v[196:199]// 000000006F04: D3E100C4 07132572
	ds_write_b32 v18, v50 offset:19712                         // 000000006F0C: D81A4D00 00003212
	v_mfma_f32_16x16x16_bf16 v[200:203], v[116:117], v[146:147], v[200:203]// 000000006F14: D3E100C8 07232574
	v_mul_f32_e32 v78, v54, v78                                // 000000006F1C: 0A9C9D36
	v_mul_f32_e32 v79, v55, v79                                // 000000006F20: 0A9E9F37
	v_mul_f32_e32 v80, v56, v80                                // 000000006F24: 0AA0A138
	v_mfma_f32_16x16x16_bf16 v[204:207], v[118:119], v[146:147], v[204:207]// 000000006F28: D3E100CC 07332576
	v_mul_f32_e32 v81, v57, v81                                // 000000006F30: 0AA2A339
	v_mul_f32_e32 v82, v58, v82                                // 000000006F34: 0AA4A53A
	v_mul_f32_e32 v83, v59, v83                                // 000000006F38: 0AA6A73B
	v_mfma_f32_16x16x16_bf16 v[208:211], v[120:121], v[146:147], v[208:211]// 000000006F3C: D3E100D0 07432578
	v_perm_b32 v75, v79, v78, s64                              // 000000006F44: D1ED004B 01029D4F
	v_perm_b32 v76, v81, v80, s64                              // 000000006F4C: D1ED004C 0102A151
	v_perm_b32 v77, v83, v82, s64                              // 000000006F54: D1ED004D 0102A553
	v_mfma_f32_16x16x16_bf16 v[212:215], v[122:123], v[146:147], v[212:215]// 000000006F5C: D3E100D4 0753257A
	v_mov_b32_dpp v16, v75 quad_perm:[1,0,3,2] row_mask:0xf bank_mask:0xf// 000000006F64: 7E2002FA FF00B14B
	v_perm_b32 v51, v16, v75, v15                              // 000000006F6C: D1ED0033 043E9710
	v_mov_b32_dpp v16, v76 quad_perm:[1,0,3,2] row_mask:0xf bank_mask:0xf// 000000006F74: 7E2002FA FF00B14C
	v_mfma_f32_16x16x16_bf16 v[216:219], v[108:109], v[148:149], v[216:219]// 000000006F7C: D3E100D8 0763296C
	v_perm_b32 v52, v16, v76, v15                              // 000000006F84: D1ED0034 043E9910
	v_mov_b32_dpp v16, v77 quad_perm:[1,0,3,2] row_mask:0xf bank_mask:0xf// 000000006F8C: 7E2002FA FF00B14D
	v_perm_b32 v53, v16, v77, v15                              // 000000006F94: D1ED0035 043E9B10
	v_mfma_f32_16x16x16_bf16 v[220:223], v[110:111], v[148:149], v[220:223]// 000000006F9C: D3E100DC 0773296E
	ds_write_b32 v18, v51 offset:20256                         // 000000006FA4: D81A4F20 00003312
	v_mfma_f32_16x16x16_bf16 v[224:227], v[112:113], v[148:149], v[224:227]// 000000006FAC: D3E100E0 07832970
	v_mfma_f32_16x16x16_bf16 v[228:231], v[114:115], v[148:149], v[228:231]// 000000006FB4: D3E100E4 07932972
	ds_write_b32 v18, v52 offset:22016                         // 000000006FBC: D81A5600 00003412
	ds_write_b32 v18, v53 offset:22560                         // 000000006FC4: D81A5820 00003512
	v_mfma_f32_16x16x16_bf16 v[232:235], v[116:117], v[148:149], v[232:235]// 000000006FCC: D3E100E8 07A32974
	v_mfma_f32_16x16x16_bf16 v[236:239], v[118:119], v[148:149], v[236:239]// 000000006FD4: D3E100EC 07B32976
	ds_write_b32 v13, v84 offset:4352                          // 000000006FDC: D81A1100 0000540D
	ds_write_b32 v13, v85 offset:5408                          // 000000006FE4: D81A1520 0000550D
	v_mfma_f32_16x16x16_bf16 v[240:243], v[120:121], v[148:149], v[240:243]// 000000006FEC: D3E100F0 07C32978
	s_nop 0                                                    // 000000006FF4: BF800000
	s_nop 0                                                    // 000000006FF8: BF800000
	s_nop 0                                                    // 000000006FFC: BF800000
	v_mfma_f32_16x16x16_bf16 v[244:247], v[122:123], v[148:149], v[244:247]// 000000007000: D3E100F4 07D3297A
	ds_write_b32 v13, v86 offset:4480                          // 000000007008: D81A1180 0000560D
	ds_write_b32 v13, v87 offset:5536                          // 000000007010: D81A15A0 0000570D
	s_barrier                                                  // 000000007018: BF8A0000
	v_mfma_f32_16x16x16_bf16 a[160:163], a[144:145], v[72:73], a[160:163]// 00000000701C: D3E180A0 0E829190
	buffer_atomic_add_f32 v136, v7, s[32:35], 0 offen          // 000000007024: E1341000 80088807
	v_mfma_f32_16x16x16_bf16 a[164:167], a[146:147], v[72:73], a[164:167]// 00000000702C: D3E180A4 0E929192
	ds_read_b32 v124, v21 offset:51200                         // 000000007034: D86CC800 7C000015
	ds_read_b32 v150, v21 offset:51456                         // 00000000703C: D86CC900 96000015
	v_mfma_f32_16x16x16_bf16 a[168:171], a[148:149], v[72:73], a[168:171]// 000000007044: D3E180A8 0EA29194
	s_waitcnt lgkmcnt(6)                                       // 00000000704C: BF8CC67F
	s_barrier                                                  // 000000007050: BF8A0000
	v_mfma_f32_16x16x16_bf16 a[172:175], a[150:151], v[72:73], a[172:175]// 000000007054: D3E180AC 0EB29196
	ds_read_b128 v[48:51], v17 offset:17408                    // 00000000705C: D9FE4400 30000011
	v_mfma_f32_16x16x16_bf16 a[176:179], a[152:153], v[72:73], a[176:179]// 000000007064: D3E180B0 0EC29198
	v_mfma_f32_16x16x16_bf16 a[180:183], a[154:155], v[72:73], a[180:183]// 00000000706C: D3E180B4 0ED2919A
	ds_read_b128 v[52:55], v17 offset:18560                    // 000000007074: D9FE4880 34000011
	v_mfma_f32_16x16x16_bf16 a[184:187], a[156:157], v[72:73], a[184:187]// 00000000707C: D3E180B8 0EE2919C
	buffer_atomic_add_f32 v137, v8, s[32:35], 0 offen          // 000000007084: E1341000 80088908
	v_mfma_f32_16x16x16_bf16 a[188:191], a[158:159], v[72:73], a[188:191]// 00000000708C: D3E180BC 0EF2919E
	ds_read_b128 v[56:59], v17 offset:19712                    // 000000007094: D9FE4D00 38000011
	v_mfma_f32_16x16x16_bf16 a[192:195], a[144:145], v[74:75], a[192:195]// 00000000709C: D3E180C0 0F029590
	v_mfma_f32_16x16x16_bf16 a[196:199], a[146:147], v[74:75], a[196:199]// 0000000070A4: D3E180C4 0F129592
	ds_read_b128 v[60:63], v17 offset:20864                    // 0000000070AC: D9FE5180 3C000011
	v_mfma_f32_16x16x16_bf16 a[200:203], a[148:149], v[74:75], a[200:203]// 0000000070B4: D3E180C8 0F229594
	v_mfma_f32_16x16x16_bf16 a[204:207], a[150:151], v[74:75], a[204:207]// 0000000070BC: D3E180CC 0F329596
	ds_read_b128 v[64:67], v17 offset:22016                    // 0000000070C4: D9FE5600 40000011
	v_mfma_f32_16x16x16_bf16 a[208:211], a[152:153], v[74:75], a[208:211]// 0000000070CC: D3E180D0 0F429598
	buffer_atomic_add_f32 v138, v7, s[32:35], 0 offen offset:128// 0000000070D4: E1341080 80088A07
	v_mfma_f32_16x16x16_bf16 a[212:215], a[154:155], v[74:75], a[212:215]// 0000000070DC: D3E180D4 0F52959A
	ds_read_b128 v[68:71], v17 offset:23168                    // 0000000070E4: D9FE5A80 44000011
	v_mfma_f32_16x16x16_bf16 a[216:219], a[156:157], v[74:75], a[216:219]// 0000000070EC: D3E180D8 0F62959C
	v_mfma_f32_16x16x16_bf16 a[220:223], a[158:159], v[74:75], a[220:223]// 0000000070F4: D3E180DC 0F72959E
	ds_write_b32 v13, v88 offset:13056                         // 0000000070FC: D81A3300 0000580D
	v_mfma_f32_16x16x16_bf16 a[224:227], a[144:145], v[76:77], a[224:227]// 000000007104: D3E180E0 0F829990
	v_mfma_f32_16x16x16_bf16 a[228:231], a[146:147], v[76:77], a[228:231]// 00000000710C: D3E180E4 0F929992
	ds_write_b32 v13, v89 offset:14112                         // 000000007114: D81A3720 0000590D
	v_mfma_f32_16x16x16_bf16 a[232:235], a[148:149], v[76:77], a[232:235]// 00000000711C: D3E180E8 0FA29994
	buffer_atomic_add_f32 v139, v8, s[32:35], 0 offen offset:128// 000000007124: E1341080 80088B08
	v_mfma_f32_16x16x16_bf16 a[236:239], a[150:151], v[76:77], a[236:239]// 00000000712C: D3E180EC 0FB29996
	ds_write_b32 v13, v90 offset:13184                         // 000000007134: D81A3380 00005A0D
	v_mfma_f32_16x16x16_bf16 a[240:243], a[152:153], v[76:77], a[240:243]// 00000000713C: D3E180F0 0FC29998
	v_mfma_f32_16x16x16_bf16 a[244:247], a[154:155], v[76:77], a[244:247]// 000000007144: D3E180F4 0FD2999A
	ds_write_b32 v13, v91 offset:14240                         // 00000000714C: D81A37A0 00005B0D
	v_mfma_f32_16x16x16_bf16 a[248:251], a[156:157], v[76:77], a[248:251]// 000000007154: D3E180F8 0FE2999C
	v_mfma_f32_16x16x16_bf16 a[252:255], a[158:159], v[76:77], a[252:255]// 00000000715C: D3E180FC 0FF2999E
	s_waitcnt vmcnt(8) lgkmcnt(4)                              // 000000007164: BF8C0478
	s_barrier                                                  // 000000007168: BF8A0000
	v_mfma_f32_16x16x16_bf16 v[128:131], v[48:49], a[48:49], 0 // 00000000716C: D3E10080 12026130
	v_mul_f32_e32 v124, s48, v124                              // 000000007174: 0AF8F830
	s_nop 0                                                    // 000000007178: BF800000
	v_mfma_f32_16x16x16_bf16 v[128:131], v[50:51], a[52:53], v[128:131]// 00000000717C: D3E10080 16026932
	ds_read_b128 a[144:147], v10                               // 000000007184: DBFE0000 9000000A
	v_mov_b32_e32 v36, 0                                       // 00000000718C: 7E480280
	s_mov_b64 exec, s[82:83]                                   // 000000007190: BEFE0152
	buffer_load_dword v36, v1, s[8:11], 0 idxen                // 000000007194: E0502000 80022401
	s_mov_b32 exec_lo, -1                                      // 00000000719C: BEFE00C1
	s_mov_b32 exec_hi, -1                                      // 0000000071A0: BEFF00C1
	v_mfma_f32_16x16x16_bf16 v[128:131], v[52:53], a[56:57], v[128:131]// 0000000071A4: D3E10080 16027134
	v_mfma_f32_16x16x16_bf16 v[128:131], v[54:55], a[60:61], v[128:131]// 0000000071AC: D3E10080 16027936
	ds_read_b128 a[148:151], v10 offset:512                    // 0000000071B4: DBFE0200 9400000A
	v_mov_b32_e32 v37, 0                                       // 0000000071BC: 7E4A0280
	s_mov_b64 exec, s[82:83]                                   // 0000000071C0: BEFE0152
	buffer_load_dword v37, v2, s[8:11], 0 idxen                // 0000000071C4: E0502000 80022502
	s_mov_b32 exec_lo, -1                                      // 0000000071CC: BEFE00C1
	s_mov_b32 exec_hi, -1                                      // 0000000071D0: BEFF00C1
	v_mfma_f32_16x16x16_bf16 v[128:131], v[56:57], a[64:65], v[128:131]// 0000000071D4: D3E10080 16028138
	v_perm_b32 v84, v33, v32, s63                              // 0000000071DC: D1ED0054 00FE4121
	v_perm_b32 v85, v33, v32, s64                              // 0000000071E4: D1ED0055 01024121
	v_mfma_f32_16x16x16_bf16 v[128:131], v[58:59], a[68:69], v[128:131]// 0000000071EC: D3E10080 1602893A
	ds_read_b128 a[152:155], v10 offset:2176                   // 0000000071F4: DBFE0880 9800000A
	v_mov_b32_e32 v38, 0                                       // 0000000071FC: 7E4C0280
	s_mov_b64 exec, s[82:83]                                   // 000000007200: BEFE0152
	buffer_load_dword v38, v3, s[8:11], 0 idxen                // 000000007204: E0502000 80022603
	s_mov_b32 exec_lo, -1                                      // 00000000720C: BEFE00C1
	s_mov_b32 exec_hi, -1                                      // 000000007210: BEFF00C1
	v_mfma_f32_16x16x16_bf16 v[128:131], v[60:61], a[72:73], v[128:131]// 000000007214: D3E10080 1602913C
	v_perm_b32 v86, v35, v34, s63                              // 00000000721C: D1ED0056 00FE4523
	v_perm_b32 v87, v35, v34, s64                              // 000000007224: D1ED0057 01024523
	v_mfma_f32_16x16x16_bf16 v[128:131], v[62:63], a[76:77], v[128:131]// 00000000722C: D3E10080 1602993E
	ds_read_b128 a[156:159], v10 offset:2688                   // 000000007234: DBFE0A80 9C00000A
	v_mov_b32_e32 v39, 0                                       // 00000000723C: 7E4E0280
	s_mov_b64 exec, s[82:83]                                   // 000000007240: BEFE0152
	buffer_load_dword v39, v4, s[8:11], 0 idxen                // 000000007244: E0502000 80022704
	s_mov_b32 exec_lo, -1                                      // 00000000724C: BEFE00C1
	s_mov_b32 exec_hi, -1                                      // 000000007250: BEFF00C1
	v_mfma_f32_16x16x16_bf16 v[128:131], v[64:65], a[80:81], v[128:131]// 000000007254: D3E10080 1602A140
	v_perm_b32 v88, v41, v40, s63                              // 00000000725C: D1ED0058 00FE5129
	v_perm_b32 v89, v41, v40, s64                              // 000000007264: D1ED0059 01025129
	v_mfma_f32_16x16x16_bf16 v[128:131], v[66:67], a[84:85], v[128:131]// 00000000726C: D3E10080 1602A942
	ds_read_b128 v[92:95], v10 offset:8704                     // 000000007274: D9FE2200 5C00000A
	v_mov_b32_e32 v44, 0                                       // 00000000727C: 7E580280
	s_mov_b64 exec, s[82:83]                                   // 000000007280: BEFE0152
	buffer_load_dword v44, v252, s[20:23], 0 idxen             // 000000007284: E0502000 80052CFC
	s_mov_b32 exec_lo, -1                                      // 00000000728C: BEFE00C1
	s_mov_b32 exec_hi, -1                                      // 000000007290: BEFF00C1
	v_mfma_f32_16x16x16_bf16 v[128:131], v[68:69], a[88:89], v[128:131]// 000000007294: D3E10080 1602B144
	v_perm_b32 v90, v43, v42, s63                              // 00000000729C: D1ED005A 00FE552B
	v_perm_b32 v91, v43, v42, s64                              // 0000000072A4: D1ED005B 0102552B
	v_mfma_f32_16x16x16_bf16 v[128:131], v[70:71], a[92:93], v[128:131]// 0000000072AC: D3E10080 1602B946
	ds_read_b128 v[96:99], v10 offset:9216                     // 0000000072B4: D9FE2400 6000000A
	v_mov_b32_e32 v45, 0                                       // 0000000072BC: 7E5A0280
	s_mov_b64 exec, s[82:83]                                   // 0000000072C0: BEFE0152
	buffer_load_dword v45, v253, s[20:23], 0 idxen             // 0000000072C4: E0502000 80052DFD
	s_mov_b32 exec_lo, -1                                      // 0000000072CC: BEFE00C1
	s_mov_b32 exec_hi, -1                                      // 0000000072D0: BEFF00C1
	v_mfma_f32_16x16x16_bf16 v[132:135], v[48:49], a[50:51], 0 // 0000000072D4: D3E10084 12026530
	v_mov_b32_dpp v127, v124 quad_perm:[3,3,3,3] row_mask:0xf bank_mask:0xf// 0000000072DC: 7EFE02FA FF00FF7C
	v_mov_b32_dpp v126, v124 quad_perm:[2,2,2,2] row_mask:0xf bank_mask:0xf// 0000000072E4: 7EFC02FA FF00AA7C
	v_mfma_f32_16x16x16_bf16 v[132:135], v[50:51], a[54:55], v[132:135]// 0000000072EC: D3E10084 16126D32
	ds_read_b128 v[100:103], v10 offset:10880                  // 0000000072F4: D9FE2A80 6400000A
	v_mov_b32_e32 v46, 0                                       // 0000000072FC: 7E5C0280
	s_mov_b64 exec, s[82:83]                                   // 000000007300: BEFE0152
	buffer_load_dword v46, v254, s[20:23], 0 idxen             // 000000007304: E0502000 80052EFE
	s_mov_b32 exec_lo, -1                                      // 00000000730C: BEFE00C1
	s_mov_b32 exec_hi, -1                                      // 000000007310: BEFF00C1
	v_mfma_f32_16x16x16_bf16 v[132:135], v[52:53], a[58:59], v[132:135]// 000000007314: D3E10084 16127534
	v_mov_b32_dpp v125, v124 quad_perm:[1,1,1,1] row_mask:0xf bank_mask:0xf// 00000000731C: 7EFA02FA FF00557C
	v_mov_b32_dpp v124, v124 quad_perm:[0,0,0,0] row_mask:0xf bank_mask:0xf// 000000007324: 7EF802FA FF00007C
	s_add_u32 s60, 64, s59                                     // 00000000732C: 803C3BC0
	v_mfma_f32_16x16x16_bf16 v[132:135], v[54:55], a[62:63], v[132:135]// 000000007330: D3E10084 16127D36
	ds_read_b128 v[104:107], v10 offset:11392                  // 000000007338: D9FE2C80 6800000A
	v_mov_b32_e32 v47, 0                                       // 000000007340: 7E5E0280
	s_mov_b64 exec, s[82:83]                                   // 000000007344: BEFE0152
	buffer_load_dword v47, v255, s[20:23], 0 idxen             // 000000007348: E0502000 80052FFF
	s_mov_b32 exec_lo, -1                                      // 000000007350: BEFE00C1
	s_mov_b32 exec_hi, -1                                      // 000000007354: BEFF00C1
	v_mfma_f32_16x16x16_bf16 v[132:135], v[56:57], a[66:67], v[132:135]// 000000007358: D3E10084 16128538
	s_cmp_lt_u32 s60, s58                                      // 000000007360: BF0A3A3C
	s_cselect_b32 s68, s68, 0                                  // 000000007364: 85448044
	s_cselect_b32 s100, s100, 0                                // 000000007368: 85648064
	s_cselect_b32 s69, s69, 0                                  // 00000000736C: 85458045
	v_mfma_f32_16x16x16_bf16 v[132:135], v[58:59], a[70:71], v[132:135]// 000000007370: D3E10084 16128D3A
	buffer_load_dword v9, s[24:27], 0 idxen lds                // 000000007378: E0512000 80060009
	v_mfma_f32_16x16x16_bf16 v[132:135], v[60:61], a[74:75], v[132:135]// 000000007380: D3E10084 1612953C
	v_add_u32_e32 v1, s68, v1                                  // 000000007388: 68020244
	v_add_u32_e32 v2, s68, v2                                  // 00000000738C: 68040444
	v_add_u32_e32 v3, s68, v3                                  // 000000007390: 68060644
	v_add_u32_e32 v4, s68, v4                                  // 000000007394: 68080844
	v_mfma_f32_16x16x16_bf16 v[132:135], v[62:63], a[78:79], v[132:135]// 000000007398: D3E10084 16129D3E
	v_add_u32_e32 v252, s100, v252                             // 0000000073A0: 69F9F864
	v_add_u32_e32 v253, s100, v253                             // 0000000073A4: 69FBFA64
	v_add_u32_e32 v254, s100, v254                             // 0000000073A8: 69FDFC64
	v_add_u32_e32 v255, s100, v255                             // 0000000073AC: 69FFFE64
	v_mfma_f32_16x16x16_bf16 v[132:135], v[64:65], a[82:83], v[132:135]// 0000000073B0: D3E10084 1612A540
	s_mov_b32 m0, s80                                          // 0000000073B8: BEFC0050
	v_add_u32_e32 v9, s69, v9                                  // 0000000073BC: 68121245
	v_mfma_f32_16x16x16_bf16 v[132:135], v[66:67], a[86:87], v[132:135]// 0000000073C0: D3E10084 1612AD42
	s_cmp_ge_u32 s59, s73                                      // 0000000073C8: BF09493B
	s_cselect_b32 s66, s67, s66                                // 0000000073CC: 85424243
	v_mfma_f32_16x16x16_bf16 v[132:135], v[68:69], a[90:91], v[132:135]// 0000000073D0: D3E10084 1612B544
	s_addk_i32 s59, 0x10                                       // 0000000073D8: B73B0010
	s_nop 0                                                    // 0000000073DC: BF800000
	s_cmp_lt_i32 s59, s58                                      // 0000000073E0: BF043A3B
	v_mfma_f32_16x16x16_bf16 v[132:135], v[70:71], a[94:95], v[132:135]// 0000000073E4: D3E10084 1612BD46
	s_cbranch_scc0 label_1076                                  // 0000000073EC: BF8402F0
	s_waitcnt lgkmcnt(0)                                       // 0000000073F0: BF8CC07F
	s_barrier                                                  // 0000000073F4: BF8A0000
	v_mfma_f32_16x16x16_bf16 v[48:51], a[144:145], a[0:1], 0   // 0000000073F8: D3E10030 1A020190
	ds_write_b32 v11, v40 offset:8704                          // 000000007400: D81A2200 0000280B
	ds_write_b32 v11, v41 offset:9760                          // 000000007408: D81A2620 0000290B
	v_mfma_f32_16x16x16_bf16 v[48:51], a[146:147], a[2:3], v[48:51]// 000000007410: D3E10030 1CC20592
	v_mul_f32_e32 v128, s47, v128                              // 000000007418: 0B01002F
	v_mul_f32_e32 v129, s47, v129                              // 00000000741C: 0B03022F
	v_mfma_f32_16x16x16_bf16 v[48:51], a[148:149], a[4:5], v[48:51]// 000000007420: D3E10030 1CC20994
	ds_write_b32 v11, v42 offset:8832                          // 000000007428: D81A2280 00002A0B
	ds_write_b32 v11, v43 offset:9888                          // 000000007430: D81A26A0 00002B0B
	v_mfma_f32_16x16x16_bf16 v[48:51], a[150:151], a[6:7], v[48:51]// 000000007438: D3E10030 1CC20D96
	v_mul_f32_e32 v130, s47, v130                              // 000000007440: 0B05042F
	v_mul_f32_e32 v131, s47, v131                              // 000000007444: 0B07062F
	v_mfma_f32_16x16x16_bf16 v[48:51], a[152:153], a[8:9], v[48:51]// 000000007448: D3E10030 1CC21198
	ds_write_b64 v20, v[128:129] offset:24320                  // 000000007450: D89A5F00 00008014
	v_mfma_f32_16x16x16_bf16 v[48:51], a[154:155], a[10:11], v[48:51]// 000000007458: D3E10030 1CC2159A
	v_mul_f32_e32 v132, s47, v132                              // 000000007460: 0B09082F
	v_mul_f32_e32 v133, s47, v133                              // 000000007464: 0B0B0A2F
	v_mfma_f32_16x16x16_bf16 v[48:51], a[156:157], a[12:13], v[48:51]// 000000007468: D3E10030 1CC2199C
	ds_write_b64 v20, v[130:131] offset:24832                  // 000000007470: D89A6100 00008214
	v_mfma_f32_16x16x16_bf16 v[48:51], a[158:159], a[14:15], v[48:51]// 000000007478: D3E10030 1CC21D9E
	v_mul_f32_e32 v134, s47, v134                              // 000000007480: 0B0D0C2F
	v_mul_f32_e32 v135, s47, v135                              // 000000007484: 0B0F0E2F
	v_mfma_f32_16x16x16_bf16 v[52:55], a[144:145], a[16:17], 0 // 000000007488: D3E10034 1A022190
	ds_write_b64 v20, v[132:133] offset:25344                  // 000000007490: D89A6300 00008414
	v_mfma_f32_16x16x16_bf16 v[52:55], a[146:147], a[18:19], v[52:55]// 000000007498: D3E10034 1CD22592
	buffer_atomic_add_f32 v140, v7, s[32:35], 0 offen offset:256// 0000000074A0: E1341100 80088C07
	v_mfma_f32_16x16x16_bf16 v[52:55], a[148:149], a[20:21], v[52:55]// 0000000074A8: D3E10034 1CD22994
	ds_write_b64 v20, v[134:135] offset:25856                  // 0000000074B0: D89A6500 00008614
	v_mfma_f32_16x16x16_bf16 v[52:55], a[150:151], a[22:23], v[52:55]// 0000000074B8: D3E10034 1CD22D96
	v_mfma_f32_16x16x16_bf16 v[52:55], a[152:153], a[24:25], v[52:55]// 0000000074C0: D3E10034 1CD23198
	ds_read_b128 v[108:111], v12 offset:13056                  // 0000000074C8: D9FE3300 6C00000C
	ds_write_b32 v11, v32                                      // 0000000074D0: D81A0000 0000200B
	v_mfma_f32_16x16x16_bf16 v[52:55], a[154:155], a[26:27], v[52:55]// 0000000074D8: D3E10034 1CD2359A
	buffer_atomic_add_f32 v141, v8, s[32:35], 0 offen offset:256// 0000000074E0: E1341100 80088D08
	v_mfma_f32_16x16x16_bf16 v[52:55], a[156:157], a[28:29], v[52:55]// 0000000074E8: D3E10034 1CD2399C
	v_mfma_f32_16x16x16_bf16 v[52:55], a[158:159], a[30:31], v[52:55]// 0000000074F0: D3E10034 1CD23D9E
	ds_read_b128 v[112:115], v12 offset:13568                  // 0000000074F8: D9FE3500 7000000C
	ds_write_b32 v11, v33 offset:1056                          // 000000007500: D81A0420 0000210B
	v_mfma_f32_16x16x16_bf16 v[56:59], a[144:145], a[32:33], 0 // 000000007508: D3E10038 1A024190
	buffer_atomic_add_f32 v142, v7, s[32:35], 0 offen offset:384// 000000007510: E1341180 80088E07
	v_mfma_f32_16x16x16_bf16 v[56:59], a[146:147], a[34:35], v[56:59]// 000000007518: D3E10038 1CE24592
	v_mfma_f32_16x16x16_bf16 v[56:59], a[148:149], a[36:37], v[56:59]// 000000007520: D3E10038 1CE24994
	ds_read_b128 v[116:119], v12 offset:15232                  // 000000007528: D9FE3B80 7400000C
	ds_write_b32 v11, v34 offset:128                           // 000000007530: D81A0080 0000220B
	v_mfma_f32_16x16x16_bf16 v[56:59], a[150:151], a[38:39], v[56:59]// 000000007538: D3E10038 1CE24D96
	v_mfma_f32_16x16x16_bf16 v[56:59], a[152:153], a[40:41], v[56:59]// 000000007540: D3E10038 1CE25198
	buffer_atomic_add_f32 v143, v8, s[32:35], 0 offen offset:384// 000000007548: E1341180 80088F08
	v_mfma_f32_16x16x16_bf16 v[56:59], a[154:155], a[42:43], v[56:59]// 000000007550: D3E10038 1CE2559A
	ds_read_b128 v[120:123], v12 offset:15744                  // 000000007558: D9FE3D80 7800000C
	ds_write_b32 v11, v35 offset:1184                          // 000000007560: D81A04A0 0000230B
	v_mfma_f32_16x16x16_bf16 v[56:59], a[156:157], a[44:45], v[56:59]// 000000007568: D3E10038 1CE2599C
	v_mfma_f32_16x16x16_bf16 v[56:59], a[158:159], a[46:47], v[56:59]// 000000007570: D3E10038 1CE25D9E
	s_cmp_eq_i32 s88, 0                                        // 000000007578: BF008058
	s_cbranch_scc1 label_0E79                                  // 00000000757C: BF85008F
	s_cmp_lt_i32 s74, 12                                       // 000000007580: BF048C4A
	s_cbranch_scc0 label_0E24                                  // 000000007584: BF84003D
	s_lshl_b32 s60, s74, 4                                     // 000000007588: 8E3C844A
	v_sub_i32 v28, v25, s60                                    // 00000000758C: D29D001C 00007919
	s_mov_b32 s61, 0                                           // 000000007594: BEBD0080
	v_add_i32 v29, v28, s61                                    // 000000007598: D29C001D 00007B1C
	v_cmp_gt_i32_e64 s[60:61], v29, 0                          // 0000000075A0: D0C4003C 0001011D
	v_cmp_gt_i32_e64 s[70:71], v29, 1                          // 0000000075A8: D0C40046 0001031D
	v_cndmask_b32_e64 v48, v48, v151, s[60:61]                 // 0000000075B0: D1000030 00F32F30
	v_cndmask_b32_e64 v49, v49, v151, s[70:71]                 // 0000000075B8: D1000031 011B2F31
	v_cmp_gt_i32_e64 s[60:61], v29, 2                          // 0000000075C0: D0C4003C 0001051D
	v_cmp_gt_i32_e64 s[70:71], v29, 3                          // 0000000075C8: D0C40046 0001071D
	v_cndmask_b32_e64 v50, v50, v151, s[60:61]                 // 0000000075D0: D1000032 00F32F32
	v_cndmask_b32_e64 v51, v51, v151, s[70:71]                 // 0000000075D8: D1000033 011B2F33
	s_mov_b32 s61, 64                                          // 0000000075E0: BEBD00C0
	v_add_i32 v29, v28, s61                                    // 0000000075E4: D29C001D 00007B1C
	v_cmp_gt_i32_e64 s[60:61], v29, 0                          // 0000000075EC: D0C4003C 0001011D
	v_cmp_gt_i32_e64 s[70:71], v29, 1                          // 0000000075F4: D0C40046 0001031D
	v_cndmask_b32_e64 v52, v52, v151, s[60:61]                 // 0000000075FC: D1000034 00F32F34
	v_cndmask_b32_e64 v53, v53, v151, s[70:71]                 // 000000007604: D1000035 011B2F35
	v_cmp_gt_i32_e64 s[60:61], v29, 2                          // 00000000760C: D0C4003C 0001051D
	v_cmp_gt_i32_e64 s[70:71], v29, 3                          // 000000007614: D0C40046 0001071D
	v_cndmask_b32_e64 v54, v54, v151, s[60:61]                 // 00000000761C: D1000036 00F32F36
	v_cndmask_b32_e64 v55, v55, v151, s[70:71]                 // 000000007624: D1000037 011B2F37
	s_mov_b32 s61, 0x80                                        // 00000000762C: BEBD00FF 00000080
	v_add_i32 v29, v28, s61                                    // 000000007634: D29C001D 00007B1C
	v_cmp_gt_i32_e64 s[60:61], v29, 0                          // 00000000763C: D0C4003C 0001011D
	v_cmp_gt_i32_e64 s[70:71], v29, 1                          // 000000007644: D0C40046 0001031D
	v_cndmask_b32_e64 v56, v56, v151, s[60:61]                 // 00000000764C: D1000038 00F32F38
	v_cndmask_b32_e64 v57, v57, v151, s[70:71]                 // 000000007654: D1000039 011B2F39
	v_cmp_gt_i32_e64 s[60:61], v29, 2                          // 00000000765C: D0C4003C 0001051D
	v_cmp_gt_i32_e64 s[70:71], v29, 3                          // 000000007664: D0C40046 0001071D
	v_cndmask_b32_e64 v58, v58, v151, s[60:61]                 // 00000000766C: D100003A 00F32F3A
	v_cndmask_b32_e64 v59, v59, v151, s[70:71]                 // 000000007674: D100003B 011B2F3B

000000000000767c <label_0E24>:
	s_cmp_lt_i32 s84, 0xc0                                     // 00000000767C: BF04FF54 000000C0
	s_cbranch_scc0 label_0E79                                  // 000000007684: BF84004D
	s_cmp_le_i32 s84, 64                                       // 000000007688: BF05C054
	s_cbranch_scc1 label_0E30                                  // 00000000768C: BF850007
	s_cmp_le_i32 s84, 0x80                                     // 000000007690: BF05FF54 00000080
	s_cbranch_scc1 label_0E48                                  // 000000007698: BF850017
	s_cmp_lt_i32 s84, 0xc0                                     // 00000000769C: BF04FF54 000000C0
	s_cbranch_scc1 label_0E60                                  // 0000000076A4: BF85002C
	s_branch label_0E79                                        // 0000000076A8: BF820044

00000000000076ac <label_0E30>:
	s_mov_b32 s60, 0                                           // 0000000076AC: BEBC0080
	v_and_b32_e32 v28, 15, v0                                  // 0000000076B0: 2638008F
	v_add_u32_e64 v28, v28, s60                                // 0000000076B4: D134001C 0000791C
	v_mul_i32_i24_e64 v29, s46, 16                             // 0000000076BC: D106001D 0001202E
	v_add_u32_e32 v28, v28, v29                                // 0000000076C4: 68383B1C
	v_cmp_lt_u32_e64 s[60:61], v28, s84                        // 0000000076C8: D0C9003C 0000A91C
	s_nop 1                                                    // 0000000076D0: BF800001
	v_cndmask_b32_e64 v48, v151, v48, s[60:61]                 // 0000000076D4: D1000030 00F26197
	v_cndmask_b32_e64 v49, v151, v49, s[60:61]                 // 0000000076DC: D1000031 00F26397
	v_cndmask_b32_e64 v50, v151, v50, s[60:61]                 // 0000000076E4: D1000032 00F26597
	v_cndmask_b32_e64 v51, v151, v51, s[60:61]                 // 0000000076EC: D1000033 00F26797
	s_branch label_0E5B                                        // 0000000076F4: BF820013

00000000000076f8 <label_0E48>:
	s_mov_b32 s60, 64                                          // 0000000076F8: BEBC00C0
	v_and_b32_e32 v28, 15, v0                                  // 0000000076FC: 2638008F
	v_add_u32_e64 v28, v28, s60                                // 000000007700: D134001C 0000791C
	v_mul_i32_i24_e64 v29, s46, 16                             // 000000007708: D106001D 0001202E
	v_add_u32_e32 v28, v28, v29                                // 000000007710: 68383B1C
	v_cmp_lt_u32_e64 s[60:61], v28, s84                        // 000000007714: D0C9003C 0000A91C
	s_nop 1                                                    // 00000000771C: BF800001
	v_cndmask_b32_e64 v52, v151, v52, s[60:61]                 // 000000007720: D1000034 00F26997
	v_cndmask_b32_e64 v53, v151, v53, s[60:61]                 // 000000007728: D1000035 00F26B97
	v_cndmask_b32_e64 v54, v151, v54, s[60:61]                 // 000000007730: D1000036 00F26D97
	v_cndmask_b32_e64 v55, v151, v55, s[60:61]                 // 000000007738: D1000037 00F26F97
	s_branch label_0E74                                        // 000000007740: BF820019

0000000000007744 <label_0E5B>:
	v_mov_b32_e32 v52, v151                                    // 000000007744: 7E680397
	v_mov_b32_e32 v53, v151                                    // 000000007748: 7E6A0397
	v_mov_b32_e32 v54, v151                                    // 00000000774C: 7E6C0397
	v_mov_b32_e32 v55, v151                                    // 000000007750: 7E6E0397
	s_branch label_0E74                                        // 000000007754: BF820014

0000000000007758 <label_0E60>:
	s_mov_b32 s60, 0x80                                        // 000000007758: BEBC00FF 00000080
	v_and_b32_e32 v28, 15, v0                                  // 000000007760: 2638008F
	v_add_u32_e64 v28, v28, s60                                // 000000007764: D134001C 0000791C
	v_mul_i32_i24_e64 v29, s46, 16                             // 00000000776C: D106001D 0001202E
	v_add_u32_e32 v28, v28, v29                                // 000000007774: 68383B1C
	v_cmp_lt_u32_e64 s[60:61], v28, s84                        // 000000007778: D0C9003C 0000A91C
	s_nop 1                                                    // 000000007780: BF800001
	v_cndmask_b32_e64 v56, v151, v56, s[60:61]                 // 000000007784: D1000038 00F27197
	v_cndmask_b32_e64 v57, v151, v57, s[60:61]                 // 00000000778C: D1000039 00F27397
	v_cndmask_b32_e64 v58, v151, v58, s[60:61]                 // 000000007794: D100003A 00F27597
	v_cndmask_b32_e64 v59, v151, v59, s[60:61]                 // 00000000779C: D100003B 00F27797
	s_branch label_0E79                                        // 0000000077A4: BF820005

00000000000077a8 <label_0E74>:
	v_mov_b32_e32 v56, v151                                    // 0000000077A8: 7E700397
	v_mov_b32_e32 v57, v151                                    // 0000000077AC: 7E720397
	v_mov_b32_e32 v58, v151                                    // 0000000077B0: 7E740397
	v_mov_b32_e32 v59, v151                                    // 0000000077B4: 7E760397
	s_branch label_0E79                                        // 0000000077B8: BF820000

00000000000077bc <label_0E79>:
	s_addk_i32 s74, 0x1                                        // 0000000077BC: B74A0001
	s_waitcnt lgkmcnt(8)                                       // 0000000077C0: BF8CC87F
	s_barrier                                                  // 0000000077C4: BF8A0000
	v_mfma_f32_16x16x16_bf16 v[72:75], v[92:93], a[96:97], 0   // 0000000077C8: D3E10048 1202C15C
	ds_read_b128 a[144:147], v12 offset:4352                   // 0000000077D0: DBFE1100 9000000C
	ds_read_b128 a[148:151], v12 offset:4864                   // 0000000077D8: DBFE1300 9400000C
	v_mfma_f32_16x16x16_bf16 v[72:75], v[94:95], a[98:99], v[72:75]// 0000000077E0: D3E10048 1522C55E
	v_fma_f32 v48, v48, s57, -v124                             // 0000000077E8: D1CB0030 85F07330
	v_fma_f32 v49, v49, s57, -v125                             // 0000000077F0: D1CB0031 85F47331
	v_fma_f32 v50, v50, s57, -v126                             // 0000000077F8: D1CB0032 85F87332
	v_mfma_f32_16x16x16_bf16 v[72:75], v[96:97], a[100:101], v[72:75]// 000000007800: D3E10048 1522C960
	v_fma_f32 v51, v51, s57, -v127                             // 000000007808: D1CB0033 85FC7333
	v_fma_f32 v52, v52, s57, -v124                             // 000000007810: D1CB0034 85F07334
	v_fma_f32 v53, v53, s57, -v125                             // 000000007818: D1CB0035 85F47335
	v_mfma_f32_16x16x16_bf16 v[72:75], v[98:99], a[102:103], v[72:75]// 000000007820: D3E10048 1522CD62
	v_fma_f32 v54, v54, s57, -v126                             // 000000007828: D1CB0036 85F87336
	v_fma_f32 v55, v55, s57, -v127                             // 000000007830: D1CB0037 85FC7337
	v_fma_f32 v56, v56, s57, -v124                             // 000000007838: D1CB0038 85F07338
	v_mfma_f32_16x16x16_bf16 v[72:75], v[100:101], a[104:105], v[72:75]// 000000007840: D3E10048 1522D164
	ds_read_b128 a[152:155], v12 offset:6528                   // 000000007848: DBFE1980 9800000C
	ds_read_b128 a[156:159], v12 offset:7040                   // 000000007850: DBFE1B80 9C00000C
	v_mfma_f32_16x16x16_bf16 v[72:75], v[102:103], a[106:107], v[72:75]// 000000007858: D3E10048 1522D566
	v_fma_f32 v57, v57, s57, -v125                             // 000000007860: D1CB0039 85F47339
	v_fma_f32 v58, v58, s57, -v126                             // 000000007868: D1CB003A 85F8733A
	v_fma_f32 v59, v59, s57, -v127                             // 000000007870: D1CB003B 85FC733B
	v_mfma_f32_16x16x16_bf16 v[72:75], v[104:105], a[108:109], v[72:75]// 000000007878: D3E10048 1522D968
	v_exp_f32_e32 v48, v48                                     // 000000007880: 7E604130
	v_mfma_f32_16x16x16_bf16 v[72:75], v[106:107], a[110:111], v[72:75]// 000000007884: D3E10048 1522DD6A
	v_exp_f32_e32 v49, v49                                     // 00000000788C: 7E624131
	v_mfma_f32_16x16x16_bf16 v[76:79], v[92:93], a[112:113], 0 // 000000007890: D3E1004C 1202E15C
	ds_read_b64 v[136:137], v19 offset:24320                   // 000000007898: D8EC5F00 88000013
	ds_read_b64 v[138:139], v19 offset:26368                   // 0000000078A0: D8EC6700 8A000013
	v_mfma_f32_16x16x16_bf16 v[76:79], v[94:95], a[114:115], v[76:79]// 0000000078A8: D3E1004C 1532E55E
	v_exp_f32_e32 v50, v50                                     // 0000000078B0: 7E644132
	v_mfma_f32_16x16x16_bf16 v[76:79], v[96:97], a[116:117], v[76:79]// 0000000078B4: D3E1004C 1532E960
	ds_read_b64 v[140:141], v19 offset:28416                   // 0000000078BC: D8EC6F00 8C000013
	ds_read_b64 v[142:143], v19 offset:30464                   // 0000000078C4: D8EC7700 8E000013
	v_mfma_f32_16x16x16_bf16 v[76:79], v[98:99], a[118:119], v[76:79]// 0000000078CC: D3E1004C 1532ED62
	v_exp_f32_e32 v51, v51                                     // 0000000078D4: 7E664133
	v_mfma_f32_16x16x16_bf16 v[76:79], v[100:101], a[120:121], v[76:79]// 0000000078D8: D3E1004C 1532F164
	v_exp_f32_e32 v52, v52                                     // 0000000078E0: 7E684134
	v_mfma_f32_16x16x16_bf16 v[76:79], v[102:103], a[122:123], v[76:79]// 0000000078E4: D3E1004C 1532F566
	v_exp_f32_e32 v53, v53                                     // 0000000078EC: 7E6A4135
	v_mfma_f32_16x16x16_bf16 v[76:79], v[104:105], a[124:125], v[76:79]// 0000000078F0: D3E1004C 1532F968
	v_exp_f32_e32 v54, v54                                     // 0000000078F8: 7E6C4136
	v_mfma_f32_16x16x16_bf16 v[76:79], v[106:107], a[126:127], v[76:79]// 0000000078FC: D3E1004C 1532FD6A
	v_exp_f32_e32 v55, v55                                     // 000000007904: 7E6E4137
	v_mfma_f32_16x16x16_bf16 v[80:83], v[92:93], a[128:129], 0 // 000000007908: D3E10050 1203015C
	v_exp_f32_e32 v56, v56                                     // 000000007910: 7E704138
	v_mfma_f32_16x16x16_bf16 v[80:83], v[94:95], a[130:131], v[80:83]// 000000007914: D3E10050 1543055E
	v_exp_f32_e32 v57, v57                                     // 00000000791C: 7E724139
	v_mfma_f32_16x16x16_bf16 v[80:83], v[96:97], a[132:133], v[80:83]// 000000007920: D3E10050 15430960
	v_exp_f32_e32 v58, v58                                     // 000000007928: 7E74413A
	v_mfma_f32_16x16x16_bf16 v[80:83], v[98:99], a[134:135], v[80:83]// 00000000792C: D3E10050 15430D62
	v_exp_f32_e32 v59, v59                                     // 000000007934: 7E76413B
	v_mfma_f32_16x16x16_bf16 v[80:83], v[100:101], a[136:137], v[80:83]// 000000007938: D3E10050 15431164
	v_perm_b32 v144, v49, v48, s64                             // 000000007940: D1ED0090 01026131
	v_perm_b32 v145, v51, v50, s64                             // 000000007948: D1ED0091 01026533
	v_perm_b32 v146, v53, v52, s64                             // 000000007950: D1ED0092 01026935
	v_mfma_f32_16x16x16_bf16 v[80:83], v[102:103], a[138:139], v[80:83]// 000000007958: D3E10050 15431566
	v_perm_b32 v147, v55, v54, s64                             // 000000007960: D1ED0093 01026D37
	v_perm_b32 v148, v57, v56, s64                             // 000000007968: D1ED0094 01027139
	v_perm_b32 v149, v59, v58, s64                             // 000000007970: D1ED0095 0102753B
	v_mfma_f32_16x16x16_bf16 v[80:83], v[104:105], a[140:141], v[80:83]// 000000007978: D3E10050 15431968
	v_add_u32_e32 v7, s66, v7                                  // 000000007980: 680E0E42
	v_add_u32_e32 v8, s66, v8                                  // 000000007984: 68101042
	v_mfma_f32_16x16x16_bf16 v[80:83], v[106:107], a[142:143], v[80:83]// 000000007988: D3E10050 15431D6A
	s_waitcnt lgkmcnt(0)                                       // 000000007990: BF8CC07F
	s_barrier                                                  // 000000007994: BF8A0000
	v_mfma_f32_16x16x16_bf16 v[152:155], v[108:109], v[144:145], v[152:155]// 000000007998: D3E10098 0663216C
	v_subrev_f32_dpp v72, v150, v72 quad_perm:[0,0,0,0] row_mask:0xf bank_mask:0xf// 0000000079A0: 069090FA FF000096
	v_subrev_f32_dpp v73, v150, v73 quad_perm:[1,1,1,1] row_mask:0xf bank_mask:0xf// 0000000079A8: 069292FA FF005596
	v_subrev_f32_dpp v74, v150, v74 quad_perm:[2,2,2,2] row_mask:0xf bank_mask:0xf// 0000000079B0: 069494FA FF00AA96
	v_mfma_f32_16x16x16_bf16 v[156:159], v[110:111], v[144:145], v[156:159]// 0000000079B8: D3E1009C 0673216E
	v_subrev_f32_dpp v75, v150, v75 quad_perm:[3,3,3,3] row_mask:0xf bank_mask:0xf// 0000000079C0: 069696FA FF00FF96
	v_subrev_f32_dpp v76, v150, v76 quad_perm:[0,0,0,0] row_mask:0xf bank_mask:0xf// 0000000079C8: 069898FA FF000096
	v_subrev_f32_dpp v77, v150, v77 quad_perm:[1,1,1,1] row_mask:0xf bank_mask:0xf// 0000000079D0: 069A9AFA FF005596
	v_mfma_f32_16x16x16_bf16 v[160:163], v[112:113], v[144:145], v[160:163]// 0000000079D8: D3E100A0 06832170
	v_mul_f32_e32 v72, v48, v72                                // 0000000079E0: 0A909130
	v_mul_f32_e32 v73, v49, v73                                // 0000000079E4: 0A929331
	v_mul_f32_e32 v74, v50, v74                                // 0000000079E8: 0A949532
	v_mfma_f32_16x16x16_bf16 v[164:167], v[114:115], v[144:145], v[164:167]// 0000000079EC: D3E100A4 06932172
	v_mul_f32_e32 v75, v51, v75                                // 0000000079F4: 0A969733
	v_mul_f32_e32 v76, v52, v76                                // 0000000079F8: 0A989934
	v_mul_f32_e32 v77, v53, v77                                // 0000000079FC: 0A9A9B35
	v_mfma_f32_16x16x16_bf16 v[168:171], v[116:117], v[144:145], v[168:171]// 000000007A00: D3E100A8 06A32174
	v_perm_b32 v72, v73, v72, s64                              // 000000007A08: D1ED0048 01029149
	v_perm_b32 v73, v75, v74, s64                              // 000000007A10: D1ED0049 0102954B
	v_perm_b32 v74, v77, v76, s64                              // 000000007A18: D1ED004A 0102994D
	v_mfma_f32_16x16x16_bf16 v[172:175], v[118:119], v[144:145], v[172:175]// 000000007A20: D3E100AC 06B32176
	v_mov_b32_dpp v16, v72 quad_perm:[1,0,3,2] row_mask:0xf bank_mask:0xf// 000000007A28: 7E2002FA FF00B148
	v_perm_b32 v48, v16, v72, v15                              // 000000007A30: D1ED0030 043E9110
	v_mov_b32_dpp v16, v73 quad_perm:[1,0,3,2] row_mask:0xf bank_mask:0xf// 000000007A38: 7E2002FA FF00B149
	v_mfma_f32_16x16x16_bf16 v[176:179], v[120:121], v[144:145], v[176:179]// 000000007A40: D3E100B0 06C32178
	v_perm_b32 v49, v16, v73, v15                              // 000000007A48: D1ED0031 043E9310
	v_mov_b32_dpp v16, v74 quad_perm:[1,0,3,2] row_mask:0xf bank_mask:0xf// 000000007A50: 7E2002FA FF00B14A
	v_perm_b32 v50, v16, v74, v15                              // 000000007A58: D1ED0032 043E9510
	v_mfma_f32_16x16x16_bf16 v[180:183], v[122:123], v[144:145], v[180:183]// 000000007A60: D3E100B4 06D3217A
	ds_write_b32 v18, v48 offset:17408                         // 000000007A68: D81A4400 00003012
	v_mfma_f32_16x16x16_bf16 v[184:187], v[108:109], v[146:147], v[184:187]// 000000007A70: D3E100B8 06E3256C
	v_subrev_f32_dpp v78, v150, v78 quad_perm:[2,2,2,2] row_mask:0xf bank_mask:0xf// 000000007A78: 069C9CFA FF00AA96
	v_subrev_f32_dpp v79, v150, v79 quad_perm:[3,3,3,3] row_mask:0xf bank_mask:0xf// 000000007A80: 069E9EFA FF00FF96
	v_subrev_f32_dpp v80, v150, v80 quad_perm:[0,0,0,0] row_mask:0xf bank_mask:0xf// 000000007A88: 06A0A0FA FF000096
	v_mfma_f32_16x16x16_bf16 v[188:191], v[110:111], v[146:147], v[188:191]// 000000007A90: D3E100BC 06F3256E
	ds_write_b32 v18, v49 offset:17952                         // 000000007A98: D81A4620 00003112
	v_mfma_f32_16x16x16_bf16 v[192:195], v[112:113], v[146:147], v[192:195]// 000000007AA0: D3E100C0 07032570
	v_subrev_f32_dpp v81, v150, v81 quad_perm:[1,1,1,1] row_mask:0xf bank_mask:0xf// 000000007AA8: 06A2A2FA FF005596
	v_subrev_f32_dpp v82, v150, v82 quad_perm:[2,2,2,2] row_mask:0xf bank_mask:0xf// 000000007AB0: 06A4A4FA FF00AA96
	v_subrev_f32_dpp v83, v150, v83 quad_perm:[3,3,3,3] row_mask:0xf bank_mask:0xf// 000000007AB8: 06A6A6FA FF00FF96
	v_mfma_f32_16x16x16_bf16 v[196:199], v[114:115], v[146:147], v[196:199]// 000000007AC0: D3E100C4 07132572
	ds_write_b32 v18, v50 offset:19712                         // 000000007AC8: D81A4D00 00003212
	v_mfma_f32_16x16x16_bf16 v[200:203], v[116:117], v[146:147], v[200:203]// 000000007AD0: D3E100C8 07232574
	v_mul_f32_e32 v78, v54, v78                                // 000000007AD8: 0A9C9D36
	v_mul_f32_e32 v79, v55, v79                                // 000000007ADC: 0A9E9F37
	v_mul_f32_e32 v80, v56, v80                                // 000000007AE0: 0AA0A138
	v_mfma_f32_16x16x16_bf16 v[204:207], v[118:119], v[146:147], v[204:207]// 000000007AE4: D3E100CC 07332576
	v_mul_f32_e32 v81, v57, v81                                // 000000007AEC: 0AA2A339
	v_mul_f32_e32 v82, v58, v82                                // 000000007AF0: 0AA4A53A
	v_mul_f32_e32 v83, v59, v83                                // 000000007AF4: 0AA6A73B
	v_mfma_f32_16x16x16_bf16 v[208:211], v[120:121], v[146:147], v[208:211]// 000000007AF8: D3E100D0 07432578
	v_perm_b32 v75, v79, v78, s64                              // 000000007B00: D1ED004B 01029D4F
	v_perm_b32 v76, v81, v80, s64                              // 000000007B08: D1ED004C 0102A151
	v_perm_b32 v77, v83, v82, s64                              // 000000007B10: D1ED004D 0102A553
	v_mfma_f32_16x16x16_bf16 v[212:215], v[122:123], v[146:147], v[212:215]// 000000007B18: D3E100D4 0753257A
	v_mov_b32_dpp v16, v75 quad_perm:[1,0,3,2] row_mask:0xf bank_mask:0xf// 000000007B20: 7E2002FA FF00B14B
	v_perm_b32 v51, v16, v75, v15                              // 000000007B28: D1ED0033 043E9710
	v_mov_b32_dpp v16, v76 quad_perm:[1,0,3,2] row_mask:0xf bank_mask:0xf// 000000007B30: 7E2002FA FF00B14C
	v_mfma_f32_16x16x16_bf16 v[216:219], v[108:109], v[148:149], v[216:219]// 000000007B38: D3E100D8 0763296C
	v_perm_b32 v52, v16, v76, v15                              // 000000007B40: D1ED0034 043E9910
	v_mov_b32_dpp v16, v77 quad_perm:[1,0,3,2] row_mask:0xf bank_mask:0xf// 000000007B48: 7E2002FA FF00B14D
	v_perm_b32 v53, v16, v77, v15                              // 000000007B50: D1ED0035 043E9B10
	v_mfma_f32_16x16x16_bf16 v[220:223], v[110:111], v[148:149], v[220:223]// 000000007B58: D3E100DC 0773296E
	ds_write_b32 v18, v51 offset:20256                         // 000000007B60: D81A4F20 00003312
	v_mfma_f32_16x16x16_bf16 v[224:227], v[112:113], v[148:149], v[224:227]// 000000007B68: D3E100E0 07832970
	v_mfma_f32_16x16x16_bf16 v[228:231], v[114:115], v[148:149], v[228:231]// 000000007B70: D3E100E4 07932972
	ds_write_b32 v18, v52 offset:22016                         // 000000007B78: D81A5600 00003412
	ds_write_b32 v18, v53 offset:22560                         // 000000007B80: D81A5820 00003512
	v_mfma_f32_16x16x16_bf16 v[232:235], v[116:117], v[148:149], v[232:235]// 000000007B88: D3E100E8 07A32974
	v_mfma_f32_16x16x16_bf16 v[236:239], v[118:119], v[148:149], v[236:239]// 000000007B90: D3E100EC 07B32976
	ds_write_b32 v13, v84 offset:4352                          // 000000007B98: D81A1100 0000540D
	ds_write_b32 v13, v85 offset:5408                          // 000000007BA0: D81A1520 0000550D
	v_mfma_f32_16x16x16_bf16 v[240:243], v[120:121], v[148:149], v[240:243]// 000000007BA8: D3E100F0 07C32978
	s_nop 0                                                    // 000000007BB0: BF800000
	s_nop 0                                                    // 000000007BB4: BF800000
	s_nop 0                                                    // 000000007BB8: BF800000
	v_mfma_f32_16x16x16_bf16 v[244:247], v[122:123], v[148:149], v[244:247]// 000000007BBC: D3E100F4 07D3297A
	ds_write_b32 v13, v86 offset:4480                          // 000000007BC4: D81A1180 0000560D
	ds_write_b32 v13, v87 offset:5536                          // 000000007BCC: D81A15A0 0000570D
	s_barrier                                                  // 000000007BD4: BF8A0000
	v_mfma_f32_16x16x16_bf16 a[160:163], a[144:145], v[72:73], a[160:163]// 000000007BD8: D3E180A0 0E829190
	buffer_atomic_add_f32 v136, v7, s[32:35], 0 offen          // 000000007BE0: E1341000 80088807
	v_mfma_f32_16x16x16_bf16 a[164:167], a[146:147], v[72:73], a[164:167]// 000000007BE8: D3E180A4 0E929192
	ds_read_b32 v124, v21 offset:50688                         // 000000007BF0: D86CC600 7C000015
	ds_read_b32 v150, v21 offset:50944                         // 000000007BF8: D86CC700 96000015
	v_mfma_f32_16x16x16_bf16 a[168:171], a[148:149], v[72:73], a[168:171]// 000000007C00: D3E180A8 0EA29194
	s_waitcnt lgkmcnt(6)                                       // 000000007C08: BF8CC67F
	s_barrier                                                  // 000000007C0C: BF8A0000
	v_mfma_f32_16x16x16_bf16 a[172:175], a[150:151], v[72:73], a[172:175]// 000000007C10: D3E180AC 0EB29196
	ds_read_b128 v[48:51], v17 offset:17408                    // 000000007C18: D9FE4400 30000011
	v_mfma_f32_16x16x16_bf16 a[176:179], a[152:153], v[72:73], a[176:179]// 000000007C20: D3E180B0 0EC29198
	v_mfma_f32_16x16x16_bf16 a[180:183], a[154:155], v[72:73], a[180:183]// 000000007C28: D3E180B4 0ED2919A
	ds_read_b128 v[52:55], v17 offset:18560                    // 000000007C30: D9FE4880 34000011
	v_mfma_f32_16x16x16_bf16 a[184:187], a[156:157], v[72:73], a[184:187]// 000000007C38: D3E180B8 0EE2919C
	buffer_atomic_add_f32 v137, v8, s[32:35], 0 offen          // 000000007C40: E1341000 80088908
	v_mfma_f32_16x16x16_bf16 a[188:191], a[158:159], v[72:73], a[188:191]// 000000007C48: D3E180BC 0EF2919E
	ds_read_b128 v[56:59], v17 offset:19712                    // 000000007C50: D9FE4D00 38000011
	v_mfma_f32_16x16x16_bf16 a[192:195], a[144:145], v[74:75], a[192:195]// 000000007C58: D3E180C0 0F029590
	v_mfma_f32_16x16x16_bf16 a[196:199], a[146:147], v[74:75], a[196:199]// 000000007C60: D3E180C4 0F129592
	ds_read_b128 v[60:63], v17 offset:20864                    // 000000007C68: D9FE5180 3C000011
	v_mfma_f32_16x16x16_bf16 a[200:203], a[148:149], v[74:75], a[200:203]// 000000007C70: D3E180C8 0F229594
	v_mfma_f32_16x16x16_bf16 a[204:207], a[150:151], v[74:75], a[204:207]// 000000007C78: D3E180CC 0F329596
	ds_read_b128 v[64:67], v17 offset:22016                    // 000000007C80: D9FE5600 40000011
	v_mfma_f32_16x16x16_bf16 a[208:211], a[152:153], v[74:75], a[208:211]// 000000007C88: D3E180D0 0F429598
	buffer_atomic_add_f32 v138, v7, s[32:35], 0 offen offset:128// 000000007C90: E1341080 80088A07
	v_mfma_f32_16x16x16_bf16 a[212:215], a[154:155], v[74:75], a[212:215]// 000000007C98: D3E180D4 0F52959A
	ds_read_b128 v[68:71], v17 offset:23168                    // 000000007CA0: D9FE5A80 44000011
	v_mfma_f32_16x16x16_bf16 a[216:219], a[156:157], v[74:75], a[216:219]// 000000007CA8: D3E180D8 0F62959C
	v_mfma_f32_16x16x16_bf16 a[220:223], a[158:159], v[74:75], a[220:223]// 000000007CB0: D3E180DC 0F72959E
	ds_write_b32 v13, v88 offset:13056                         // 000000007CB8: D81A3300 0000580D
	v_mfma_f32_16x16x16_bf16 a[224:227], a[144:145], v[76:77], a[224:227]// 000000007CC0: D3E180E0 0F829990
	v_mfma_f32_16x16x16_bf16 a[228:231], a[146:147], v[76:77], a[228:231]// 000000007CC8: D3E180E4 0F929992
	ds_write_b32 v13, v89 offset:14112                         // 000000007CD0: D81A3720 0000590D
	v_mfma_f32_16x16x16_bf16 a[232:235], a[148:149], v[76:77], a[232:235]// 000000007CD8: D3E180E8 0FA29994
	buffer_atomic_add_f32 v139, v8, s[32:35], 0 offen offset:128// 000000007CE0: E1341080 80088B08
	v_mfma_f32_16x16x16_bf16 a[236:239], a[150:151], v[76:77], a[236:239]// 000000007CE8: D3E180EC 0FB29996
	ds_write_b32 v13, v90 offset:13184                         // 000000007CF0: D81A3380 00005A0D
	v_mfma_f32_16x16x16_bf16 a[240:243], a[152:153], v[76:77], a[240:243]// 000000007CF8: D3E180F0 0FC29998
	v_mfma_f32_16x16x16_bf16 a[244:247], a[154:155], v[76:77], a[244:247]// 000000007D00: D3E180F4 0FD2999A
	ds_write_b32 v13, v91 offset:14240                         // 000000007D08: D81A37A0 00005B0D
	v_mfma_f32_16x16x16_bf16 a[248:251], a[156:157], v[76:77], a[248:251]// 000000007D10: D3E180F8 0FE2999C
	v_mfma_f32_16x16x16_bf16 a[252:255], a[158:159], v[76:77], a[252:255]// 000000007D18: D3E180FC 0FF2999E
	s_waitcnt vmcnt(8) lgkmcnt(4)                              // 000000007D20: BF8C0478
	s_barrier                                                  // 000000007D24: BF8A0000
	v_mfma_f32_16x16x16_bf16 v[128:131], v[48:49], a[48:49], 0 // 000000007D28: D3E10080 12026130
	v_mul_f32_e32 v124, s48, v124                              // 000000007D30: 0AF8F830
	s_nop 0                                                    // 000000007D34: BF800000
	v_mfma_f32_16x16x16_bf16 v[128:131], v[50:51], a[52:53], v[128:131]// 000000007D38: D3E10080 16026932
	ds_read_b128 a[144:147], v10                               // 000000007D40: DBFE0000 9000000A
	v_mov_b32_e32 v32, 0                                       // 000000007D48: 7E400280
	s_mov_b64 exec, s[82:83]                                   // 000000007D4C: BEFE0152
	buffer_load_dword v32, v1, s[8:11], 0 idxen                // 000000007D50: E0502000 80022001
	s_mov_b32 exec_lo, -1                                      // 000000007D58: BEFE00C1
	s_mov_b32 exec_hi, -1                                      // 000000007D5C: BEFF00C1
	v_mfma_f32_16x16x16_bf16 v[128:131], v[52:53], a[56:57], v[128:131]// 000000007D60: D3E10080 16027134
	v_mfma_f32_16x16x16_bf16 v[128:131], v[54:55], a[60:61], v[128:131]// 000000007D68: D3E10080 16027936
	ds_read_b128 a[148:151], v10 offset:512                    // 000000007D70: DBFE0200 9400000A
	v_mov_b32_e32 v33, 0                                       // 000000007D78: 7E420280
	s_mov_b64 exec, s[82:83]                                   // 000000007D7C: BEFE0152
	buffer_load_dword v33, v2, s[8:11], 0 idxen                // 000000007D80: E0502000 80022102
	s_mov_b32 exec_lo, -1                                      // 000000007D88: BEFE00C1
	s_mov_b32 exec_hi, -1                                      // 000000007D8C: BEFF00C1
	v_mfma_f32_16x16x16_bf16 v[128:131], v[56:57], a[64:65], v[128:131]// 000000007D90: D3E10080 16028138
	v_perm_b32 v84, v37, v36, s63                              // 000000007D98: D1ED0054 00FE4925
	v_perm_b32 v85, v37, v36, s64                              // 000000007DA0: D1ED0055 01024925
	v_mfma_f32_16x16x16_bf16 v[128:131], v[58:59], a[68:69], v[128:131]// 000000007DA8: D3E10080 1602893A
	ds_read_b128 a[152:155], v10 offset:2176                   // 000000007DB0: DBFE0880 9800000A
	v_mov_b32_e32 v34, 0                                       // 000000007DB8: 7E440280
	s_mov_b64 exec, s[82:83]                                   // 000000007DBC: BEFE0152
	buffer_load_dword v34, v3, s[8:11], 0 idxen                // 000000007DC0: E0502000 80022203
	s_mov_b32 exec_lo, -1                                      // 000000007DC8: BEFE00C1
	s_mov_b32 exec_hi, -1                                      // 000000007DCC: BEFF00C1
	v_mfma_f32_16x16x16_bf16 v[128:131], v[60:61], a[72:73], v[128:131]// 000000007DD0: D3E10080 1602913C
	v_perm_b32 v86, v39, v38, s63                              // 000000007DD8: D1ED0056 00FE4D27
	v_perm_b32 v87, v39, v38, s64                              // 000000007DE0: D1ED0057 01024D27
	v_mfma_f32_16x16x16_bf16 v[128:131], v[62:63], a[76:77], v[128:131]// 000000007DE8: D3E10080 1602993E
	ds_read_b128 a[156:159], v10 offset:2688                   // 000000007DF0: DBFE0A80 9C00000A
	v_mov_b32_e32 v35, 0                                       // 000000007DF8: 7E460280
	s_mov_b64 exec, s[82:83]                                   // 000000007DFC: BEFE0152
	buffer_load_dword v35, v4, s[8:11], 0 idxen                // 000000007E00: E0502000 80022304
	s_mov_b32 exec_lo, -1                                      // 000000007E08: BEFE00C1
	s_mov_b32 exec_hi, -1                                      // 000000007E0C: BEFF00C1
	v_mfma_f32_16x16x16_bf16 v[128:131], v[64:65], a[80:81], v[128:131]// 000000007E10: D3E10080 1602A140
	v_perm_b32 v88, v45, v44, s63                              // 000000007E18: D1ED0058 00FE592D
	v_perm_b32 v89, v45, v44, s64                              // 000000007E20: D1ED0059 0102592D
	v_mfma_f32_16x16x16_bf16 v[128:131], v[66:67], a[84:85], v[128:131]// 000000007E28: D3E10080 1602A942
	ds_read_b128 v[92:95], v10 offset:8704                     // 000000007E30: D9FE2200 5C00000A
	v_mov_b32_e32 v40, 0                                       // 000000007E38: 7E500280
	s_mov_b64 exec, s[82:83]                                   // 000000007E3C: BEFE0152
	buffer_load_dword v40, v252, s[20:23], 0 idxen             // 000000007E40: E0502000 800528FC
	s_mov_b32 exec_lo, -1                                      // 000000007E48: BEFE00C1
	s_mov_b32 exec_hi, -1                                      // 000000007E4C: BEFF00C1
	v_mfma_f32_16x16x16_bf16 v[128:131], v[68:69], a[88:89], v[128:131]// 000000007E50: D3E10080 1602B144
	v_perm_b32 v90, v47, v46, s63                              // 000000007E58: D1ED005A 00FE5D2F
	v_perm_b32 v91, v47, v46, s64                              // 000000007E60: D1ED005B 01025D2F
	v_mfma_f32_16x16x16_bf16 v[128:131], v[70:71], a[92:93], v[128:131]// 000000007E68: D3E10080 1602B946
	ds_read_b128 v[96:99], v10 offset:9216                     // 000000007E70: D9FE2400 6000000A
	v_mov_b32_e32 v41, 0                                       // 000000007E78: 7E520280
	s_mov_b64 exec, s[82:83]                                   // 000000007E7C: BEFE0152
	buffer_load_dword v41, v253, s[20:23], 0 idxen             // 000000007E80: E0502000 800529FD
	s_mov_b32 exec_lo, -1                                      // 000000007E88: BEFE00C1
	s_mov_b32 exec_hi, -1                                      // 000000007E8C: BEFF00C1
	v_mfma_f32_16x16x16_bf16 v[132:135], v[48:49], a[50:51], 0 // 000000007E90: D3E10084 12026530
	v_mov_b32_dpp v127, v124 quad_perm:[3,3,3,3] row_mask:0xf bank_mask:0xf// 000000007E98: 7EFE02FA FF00FF7C
	v_mov_b32_dpp v126, v124 quad_perm:[2,2,2,2] row_mask:0xf bank_mask:0xf// 000000007EA0: 7EFC02FA FF00AA7C
	v_mfma_f32_16x16x16_bf16 v[132:135], v[50:51], a[54:55], v[132:135]// 000000007EA8: D3E10084 16126D32
	ds_read_b128 v[100:103], v10 offset:10880                  // 000000007EB0: D9FE2A80 6400000A
	v_mov_b32_e32 v42, 0                                       // 000000007EB8: 7E540280
	s_mov_b64 exec, s[82:83]                                   // 000000007EBC: BEFE0152
	buffer_load_dword v42, v254, s[20:23], 0 idxen             // 000000007EC0: E0502000 80052AFE
	s_mov_b32 exec_lo, -1                                      // 000000007EC8: BEFE00C1
	s_mov_b32 exec_hi, -1                                      // 000000007ECC: BEFF00C1
	v_mfma_f32_16x16x16_bf16 v[132:135], v[52:53], a[58:59], v[132:135]// 000000007ED0: D3E10084 16127534
	v_mov_b32_dpp v125, v124 quad_perm:[1,1,1,1] row_mask:0xf bank_mask:0xf// 000000007ED8: 7EFA02FA FF00557C
	v_mov_b32_dpp v124, v124 quad_perm:[0,0,0,0] row_mask:0xf bank_mask:0xf// 000000007EE0: 7EF802FA FF00007C
	s_add_u32 s60, 64, s59                                     // 000000007EE8: 803C3BC0
	v_mfma_f32_16x16x16_bf16 v[132:135], v[54:55], a[62:63], v[132:135]// 000000007EEC: D3E10084 16127D36
	ds_read_b128 v[104:107], v10 offset:11392                  // 000000007EF4: D9FE2C80 6800000A
	v_mov_b32_e32 v43, 0                                       // 000000007EFC: 7E560280
	s_mov_b64 exec, s[82:83]                                   // 000000007F00: BEFE0152
	buffer_load_dword v43, v255, s[20:23], 0 idxen             // 000000007F04: E0502000 80052BFF
	s_mov_b32 exec_lo, -1                                      // 000000007F0C: BEFE00C1
	s_mov_b32 exec_hi, -1                                      // 000000007F10: BEFF00C1
	v_mfma_f32_16x16x16_bf16 v[132:135], v[56:57], a[66:67], v[132:135]// 000000007F14: D3E10084 16128538
	s_cmp_lt_u32 s60, s58                                      // 000000007F1C: BF0A3A3C
	s_cselect_b32 s68, s68, 0                                  // 000000007F20: 85448044
	s_cselect_b32 s100, s100, 0                                // 000000007F24: 85648064
	s_cselect_b32 s69, s69, 0                                  // 000000007F28: 85458045
	v_mfma_f32_16x16x16_bf16 v[132:135], v[58:59], a[70:71], v[132:135]// 000000007F2C: D3E10084 16128D3A
	buffer_load_dword v9, s[24:27], 0 idxen lds                // 000000007F34: E0512000 80060009
	v_mfma_f32_16x16x16_bf16 v[132:135], v[60:61], a[74:75], v[132:135]// 000000007F3C: D3E10084 1612953C
	v_add_u32_e32 v1, s68, v1                                  // 000000007F44: 68020244
	v_add_u32_e32 v2, s68, v2                                  // 000000007F48: 68040444
	v_add_u32_e32 v3, s68, v3                                  // 000000007F4C: 68060644
	v_add_u32_e32 v4, s68, v4                                  // 000000007F50: 68080844
	v_mfma_f32_16x16x16_bf16 v[132:135], v[62:63], a[78:79], v[132:135]// 000000007F54: D3E10084 16129D3E
	v_add_u32_e32 v252, s100, v252                             // 000000007F5C: 69F9F864
	v_add_u32_e32 v253, s100, v253                             // 000000007F60: 69FBFA64
	v_add_u32_e32 v254, s100, v254                             // 000000007F64: 69FDFC64
	v_add_u32_e32 v255, s100, v255                             // 000000007F68: 69FFFE64
	v_mfma_f32_16x16x16_bf16 v[132:135], v[64:65], a[82:83], v[132:135]// 000000007F6C: D3E10084 1612A540
	s_mov_b32 m0, s81                                          // 000000007F74: BEFC0051
	v_add_u32_e32 v9, s69, v9                                  // 000000007F78: 68121245
	v_mfma_f32_16x16x16_bf16 v[132:135], v[66:67], a[86:87], v[132:135]// 000000007F7C: D3E10084 1612AD42
	s_cmp_ge_u32 s59, s73                                      // 000000007F84: BF09493B
	s_cselect_b32 s66, s67, s66                                // 000000007F88: 85424243
	v_mfma_f32_16x16x16_bf16 v[132:135], v[68:69], a[90:91], v[132:135]// 000000007F8C: D3E10084 1612B544
	s_addk_i32 s59, 0x10                                       // 000000007F94: B73B0010
	s_nop 0                                                    // 000000007F98: BF800000
	s_cmp_lt_i32 s59, s58                                      // 000000007F9C: BF043A3B
	v_mfma_f32_16x16x16_bf16 v[132:135], v[70:71], a[94:95], v[132:135]// 000000007FA0: D3E10084 1612BD46
	s_cbranch_scc0 label_1076                                  // 000000007FA8: BF840001
	s_branch label_0A8D                                        // 000000007FAC: BF82FA21

0000000000007fb0 <label_1076>:
	s_nop 0                                                    // 000000007FB0: BF800000
	s_nop 0                                                    // 000000007FB4: BF800000
	s_branch label_1662                                        // 000000007FB8: BF8205DF

0000000000007fbc <label_1079>:
	s_waitcnt lgkmcnt(0)                                       // 000000007FBC: BF8CC07F
	s_barrier                                                  // 000000007FC0: BF8A0000
	v_mfma_f32_16x16x16_bf16 v[48:51], a[144:145], a[0:1], 0   // 000000007FC4: D3E10030 1A020190
	v_mul_f32_e32 v128, s47, v128                              // 000000007FCC: 0B01002F
	v_mul_f32_e32 v129, s47, v129                              // 000000007FD0: 0B03022F
	v_mfma_f32_16x16x16_bf16 v[48:51], a[146:147], a[2:3], v[48:51]// 000000007FD4: D3E10030 1CC20592
	ds_write_b32 v11, v44 offset:8704                          // 000000007FDC: D81A2200 00002C0B
	ds_write_b32 v11, v45 offset:9760                          // 000000007FE4: D81A2620 00002D0B
	v_mfma_f32_16x16x16_bf16 v[48:51], a[148:149], a[4:5], v[48:51]// 000000007FEC: D3E10030 1CC20994
	v_mul_f32_e32 v130, s47, v130                              // 000000007FF4: 0B05042F
	v_mul_f32_e32 v131, s47, v131                              // 000000007FF8: 0B07062F
	v_mfma_f32_16x16x16_bf16 v[48:51], a[150:151], a[6:7], v[48:51]// 000000007FFC: D3E10030 1CC20D96
	ds_write_b32 v11, v46 offset:8832                          // 000000008004: D81A2280 00002E0B
	ds_write_b32 v11, v47 offset:9888                          // 00000000800C: D81A26A0 00002F0B
	v_mfma_f32_16x16x16_bf16 v[48:51], a[152:153], a[8:9], v[48:51]// 000000008014: D3E10030 1CC21198
	v_mul_f32_e32 v132, s47, v132                              // 00000000801C: 0B09082F
	v_mul_f32_e32 v133, s47, v133                              // 000000008020: 0B0B0A2F
	v_mfma_f32_16x16x16_bf16 v[48:51], a[154:155], a[10:11], v[48:51]// 000000008024: D3E10030 1CC2159A
	ds_write_b64 v20, v[128:129] offset:24320                  // 00000000802C: D89A5F00 00008014
	v_mfma_f32_16x16x16_bf16 v[48:51], a[156:157], a[12:13], v[48:51]// 000000008034: D3E10030 1CC2199C
	v_mul_f32_e32 v134, s47, v134                              // 00000000803C: 0B0D0C2F
	v_mul_f32_e32 v135, s47, v135                              // 000000008040: 0B0F0E2F
	v_mfma_f32_16x16x16_bf16 v[48:51], a[158:159], a[14:15], v[48:51]// 000000008044: D3E10030 1CC21D9E
	ds_write_b64 v20, v[130:131] offset:24832                  // 00000000804C: D89A6100 00008214
	v_mfma_f32_16x16x16_bf16 v[52:55], a[144:145], a[16:17], 0 // 000000008054: D3E10034 1A022190
	buffer_atomic_add_f32 v140, v7, s[32:35], 0 offen offset:256// 00000000805C: E1341100 80088C07
	v_mfma_f32_16x16x16_bf16 v[52:55], a[146:147], a[18:19], v[52:55]// 000000008064: D3E10034 1CD22592
	ds_write_b64 v20, v[132:133] offset:25344                  // 00000000806C: D89A6300 00008414
	v_mfma_f32_16x16x16_bf16 v[52:55], a[148:149], a[20:21], v[52:55]// 000000008074: D3E10034 1CD22994
	v_mfma_f32_16x16x16_bf16 v[52:55], a[150:151], a[22:23], v[52:55]// 00000000807C: D3E10034 1CD22D96
	ds_write_b64 v20, v[134:135] offset:25856                  // 000000008084: D89A6500 00008614
	v_mfma_f32_16x16x16_bf16 v[52:55], a[152:153], a[24:25], v[52:55]// 00000000808C: D3E10034 1CD23198
	buffer_atomic_add_f32 v141, v8, s[32:35], 0 offen offset:256// 000000008094: E1341100 80088D08
	v_mfma_f32_16x16x16_bf16 v[52:55], a[154:155], a[26:27], v[52:55]// 00000000809C: D3E10034 1CD2359A
	ds_read_b128 v[108:111], v12 offset:13056                  // 0000000080A4: D9FE3300 6C00000C
	ds_write_b32 v11, v36                                      // 0000000080AC: D81A0000 0000240B
	v_mfma_f32_16x16x16_bf16 v[52:55], a[156:157], a[28:29], v[52:55]// 0000000080B4: D3E10034 1CD2399C
	v_mfma_f32_16x16x16_bf16 v[52:55], a[158:159], a[30:31], v[52:55]// 0000000080BC: D3E10034 1CD23D9E
	v_mfma_f32_16x16x16_bf16 v[56:59], a[144:145], a[32:33], 0 // 0000000080C4: D3E10038 1A024190
	ds_read_b128 v[112:115], v12 offset:13568                  // 0000000080CC: D9FE3500 7000000C
	ds_write_b32 v11, v37 offset:1056                          // 0000000080D4: D81A0420 0000250B
	v_mfma_f32_16x16x16_bf16 v[56:59], a[146:147], a[34:35], v[56:59]// 0000000080DC: D3E10038 1CE24592
	buffer_atomic_add_f32 v142, v7, s[32:35], 0 offen offset:384// 0000000080E4: E1341180 80088E07
	v_mfma_f32_16x16x16_bf16 v[56:59], a[148:149], a[36:37], v[56:59]// 0000000080EC: D3E10038 1CE24994
	v_mfma_f32_16x16x16_bf16 v[56:59], a[150:151], a[38:39], v[56:59]// 0000000080F4: D3E10038 1CE24D96
	ds_read_b128 v[116:119], v12 offset:15232                  // 0000000080FC: D9FE3B80 7400000C
	ds_write_b32 v11, v38 offset:128                           // 000000008104: D81A0080 0000260B
	v_mfma_f32_16x16x16_bf16 v[56:59], a[152:153], a[40:41], v[56:59]// 00000000810C: D3E10038 1CE25198
	v_mfma_f32_16x16x16_bf16 v[56:59], a[154:155], a[42:43], v[56:59]// 000000008114: D3E10038 1CE2559A
	buffer_atomic_add_f32 v143, v8, s[32:35], 0 offen offset:384// 00000000811C: E1341180 80088F08
	v_mfma_f32_16x16x16_bf16 v[56:59], a[156:157], a[44:45], v[56:59]// 000000008124: D3E10038 1CE2599C
	ds_read_b128 v[120:123], v12 offset:15744                  // 00000000812C: D9FE3D80 7800000C
	ds_write_b32 v11, v39 offset:1184                          // 000000008134: D81A04A0 0000270B
	v_mfma_f32_16x16x16_bf16 v[56:59], a[158:159], a[46:47], v[56:59]// 00000000813C: D3E10038 1CE25D9E
	s_cmp_eq_i32 s88, 0                                        // 000000008144: BF008058
	s_cbranch_scc1 label_1171                                  // 000000008148: BF85008F
	s_cmp_lt_i32 s74, 12                                       // 00000000814C: BF048C4A
	s_cbranch_scc0 label_111C                                  // 000000008150: BF84003D
	s_lshl_b32 s60, s74, 4                                     // 000000008154: 8E3C844A
	v_sub_i32 v28, v25, s60                                    // 000000008158: D29D001C 00007919
	s_mov_b32 s61, 0                                           // 000000008160: BEBD0080
	v_add_i32 v29, v28, s61                                    // 000000008164: D29C001D 00007B1C
	v_cmp_gt_i32_e64 s[60:61], v29, 0                          // 00000000816C: D0C4003C 0001011D
	v_cmp_gt_i32_e64 s[70:71], v29, 1                          // 000000008174: D0C40046 0001031D
	v_cndmask_b32_e64 v48, v48, v151, s[60:61]                 // 00000000817C: D1000030 00F32F30
	v_cndmask_b32_e64 v49, v49, v151, s[70:71]                 // 000000008184: D1000031 011B2F31
	v_cmp_gt_i32_e64 s[60:61], v29, 2                          // 00000000818C: D0C4003C 0001051D
	v_cmp_gt_i32_e64 s[70:71], v29, 3                          // 000000008194: D0C40046 0001071D
	v_cndmask_b32_e64 v50, v50, v151, s[60:61]                 // 00000000819C: D1000032 00F32F32
	v_cndmask_b32_e64 v51, v51, v151, s[70:71]                 // 0000000081A4: D1000033 011B2F33
	s_mov_b32 s61, 64                                          // 0000000081AC: BEBD00C0
	v_add_i32 v29, v28, s61                                    // 0000000081B0: D29C001D 00007B1C
	v_cmp_gt_i32_e64 s[60:61], v29, 0                          // 0000000081B8: D0C4003C 0001011D
	v_cmp_gt_i32_e64 s[70:71], v29, 1                          // 0000000081C0: D0C40046 0001031D
	v_cndmask_b32_e64 v52, v52, v151, s[60:61]                 // 0000000081C8: D1000034 00F32F34
	v_cndmask_b32_e64 v53, v53, v151, s[70:71]                 // 0000000081D0: D1000035 011B2F35
	v_cmp_gt_i32_e64 s[60:61], v29, 2                          // 0000000081D8: D0C4003C 0001051D
	v_cmp_gt_i32_e64 s[70:71], v29, 3                          // 0000000081E0: D0C40046 0001071D
	v_cndmask_b32_e64 v54, v54, v151, s[60:61]                 // 0000000081E8: D1000036 00F32F36
	v_cndmask_b32_e64 v55, v55, v151, s[70:71]                 // 0000000081F0: D1000037 011B2F37
	s_mov_b32 s61, 0x80                                        // 0000000081F8: BEBD00FF 00000080
	v_add_i32 v29, v28, s61                                    // 000000008200: D29C001D 00007B1C
	v_cmp_gt_i32_e64 s[60:61], v29, 0                          // 000000008208: D0C4003C 0001011D
	v_cmp_gt_i32_e64 s[70:71], v29, 1                          // 000000008210: D0C40046 0001031D
	v_cndmask_b32_e64 v56, v56, v151, s[60:61]                 // 000000008218: D1000038 00F32F38
	v_cndmask_b32_e64 v57, v57, v151, s[70:71]                 // 000000008220: D1000039 011B2F39
	v_cmp_gt_i32_e64 s[60:61], v29, 2                          // 000000008228: D0C4003C 0001051D
	v_cmp_gt_i32_e64 s[70:71], v29, 3                          // 000000008230: D0C40046 0001071D
	v_cndmask_b32_e64 v58, v58, v151, s[60:61]                 // 000000008238: D100003A 00F32F3A
	v_cndmask_b32_e64 v59, v59, v151, s[70:71]                 // 000000008240: D100003B 011B2F3B

0000000000008248 <label_111C>:
	s_cmp_lt_i32 s84, 0xc0                                     // 000000008248: BF04FF54 000000C0
	s_cbranch_scc0 label_1171                                  // 000000008250: BF84004D
	s_cmp_le_i32 s84, 64                                       // 000000008254: BF05C054
	s_cbranch_scc1 label_1128                                  // 000000008258: BF850007
	s_cmp_le_i32 s84, 0x80                                     // 00000000825C: BF05FF54 00000080
	s_cbranch_scc1 label_1140                                  // 000000008264: BF850017
	s_cmp_lt_i32 s84, 0xc0                                     // 000000008268: BF04FF54 000000C0
	s_cbranch_scc1 label_1158                                  // 000000008270: BF85002C
	s_branch label_1171                                        // 000000008274: BF820044

0000000000008278 <label_1128>:
	s_mov_b32 s60, 0                                           // 000000008278: BEBC0080
	v_and_b32_e32 v28, 15, v0                                  // 00000000827C: 2638008F
	v_add_u32_e64 v28, v28, s60                                // 000000008280: D134001C 0000791C
	v_mul_i32_i24_e64 v29, s46, 16                             // 000000008288: D106001D 0001202E
	v_add_u32_e32 v28, v28, v29                                // 000000008290: 68383B1C
	v_cmp_lt_u32_e64 s[60:61], v28, s84                        // 000000008294: D0C9003C 0000A91C
	s_nop 1                                                    // 00000000829C: BF800001
	v_cndmask_b32_e64 v48, v151, v48, s[60:61]                 // 0000000082A0: D1000030 00F26197
	v_cndmask_b32_e64 v49, v151, v49, s[60:61]                 // 0000000082A8: D1000031 00F26397
	v_cndmask_b32_e64 v50, v151, v50, s[60:61]                 // 0000000082B0: D1000032 00F26597
	v_cndmask_b32_e64 v51, v151, v51, s[60:61]                 // 0000000082B8: D1000033 00F26797
	s_branch label_1153                                        // 0000000082C0: BF820013

00000000000082c4 <label_1140>:
	s_mov_b32 s60, 64                                          // 0000000082C4: BEBC00C0
	v_and_b32_e32 v28, 15, v0                                  // 0000000082C8: 2638008F
	v_add_u32_e64 v28, v28, s60                                // 0000000082CC: D134001C 0000791C
	v_mul_i32_i24_e64 v29, s46, 16                             // 0000000082D4: D106001D 0001202E
	v_add_u32_e32 v28, v28, v29                                // 0000000082DC: 68383B1C
	v_cmp_lt_u32_e64 s[60:61], v28, s84                        // 0000000082E0: D0C9003C 0000A91C
	s_nop 1                                                    // 0000000082E8: BF800001
	v_cndmask_b32_e64 v52, v151, v52, s[60:61]                 // 0000000082EC: D1000034 00F26997
	v_cndmask_b32_e64 v53, v151, v53, s[60:61]                 // 0000000082F4: D1000035 00F26B97
	v_cndmask_b32_e64 v54, v151, v54, s[60:61]                 // 0000000082FC: D1000036 00F26D97
	v_cndmask_b32_e64 v55, v151, v55, s[60:61]                 // 000000008304: D1000037 00F26F97
	s_branch label_116C                                        // 00000000830C: BF820019

0000000000008310 <label_1153>:
	v_mov_b32_e32 v52, v151                                    // 000000008310: 7E680397
	v_mov_b32_e32 v53, v151                                    // 000000008314: 7E6A0397
	v_mov_b32_e32 v54, v151                                    // 000000008318: 7E6C0397
	v_mov_b32_e32 v55, v151                                    // 00000000831C: 7E6E0397
	s_branch label_116C                                        // 000000008320: BF820014

0000000000008324 <label_1158>:
	s_mov_b32 s60, 0x80                                        // 000000008324: BEBC00FF 00000080
	v_and_b32_e32 v28, 15, v0                                  // 00000000832C: 2638008F
	v_add_u32_e64 v28, v28, s60                                // 000000008330: D134001C 0000791C
	v_mul_i32_i24_e64 v29, s46, 16                             // 000000008338: D106001D 0001202E
	v_add_u32_e32 v28, v28, v29                                // 000000008340: 68383B1C
	v_cmp_lt_u32_e64 s[60:61], v28, s84                        // 000000008344: D0C9003C 0000A91C
	s_nop 1                                                    // 00000000834C: BF800001
	v_cndmask_b32_e64 v56, v151, v56, s[60:61]                 // 000000008350: D1000038 00F27197
	v_cndmask_b32_e64 v57, v151, v57, s[60:61]                 // 000000008358: D1000039 00F27397
	v_cndmask_b32_e64 v58, v151, v58, s[60:61]                 // 000000008360: D100003A 00F27597
	v_cndmask_b32_e64 v59, v151, v59, s[60:61]                 // 000000008368: D100003B 00F27797
	s_branch label_1171                                        // 000000008370: BF820005

0000000000008374 <label_116C>:
	v_mov_b32_e32 v56, v151                                    // 000000008374: 7E700397
	v_mov_b32_e32 v57, v151                                    // 000000008378: 7E720397
	v_mov_b32_e32 v58, v151                                    // 00000000837C: 7E740397
	v_mov_b32_e32 v59, v151                                    // 000000008380: 7E760397
	s_branch label_1171                                        // 000000008384: BF820000

0000000000008388 <label_1171>:
	s_addk_i32 s74, 0x1                                        // 000000008388: B74A0001
	s_waitcnt lgkmcnt(8)                                       // 00000000838C: BF8CC87F
	s_barrier                                                  // 000000008390: BF8A0000
	v_mfma_f32_16x16x16_bf16 v[72:75], v[92:93], a[96:97], 0   // 000000008394: D3E10048 1202C15C
	v_fma_f32 v48, v48, s57, -v124                             // 00000000839C: D1CB0030 85F07330
	v_fma_f32 v49, v49, s57, -v125                             // 0000000083A4: D1CB0031 85F47331
	v_fma_f32 v50, v50, s57, -v126                             // 0000000083AC: D1CB0032 85F87332
	v_mfma_f32_16x16x16_bf16 v[72:75], v[94:95], a[98:99], v[72:75]// 0000000083B4: D3E10048 1522C55E
	ds_read_b128 a[144:147], v12 offset:4352                   // 0000000083BC: DBFE1100 9000000C
	ds_read_b128 a[148:151], v12 offset:4864                   // 0000000083C4: DBFE1300 9400000C
	v_mfma_f32_16x16x16_bf16 v[72:75], v[96:97], a[100:101], v[72:75]// 0000000083CC: D3E10048 1522C960
	v_fma_f32 v51, v51, s57, -v127                             // 0000000083D4: D1CB0033 85FC7333
	v_fma_f32 v52, v52, s57, -v124                             // 0000000083DC: D1CB0034 85F07334
	v_fma_f32 v53, v53, s57, -v125                             // 0000000083E4: D1CB0035 85F47335
	v_mfma_f32_16x16x16_bf16 v[72:75], v[98:99], a[102:103], v[72:75]// 0000000083EC: D3E10048 1522CD62
	v_fma_f32 v54, v54, s57, -v126                             // 0000000083F4: D1CB0036 85F87336
	v_fma_f32 v55, v55, s57, -v127                             // 0000000083FC: D1CB0037 85FC7337
	v_fma_f32 v56, v56, s57, -v124                             // 000000008404: D1CB0038 85F07338
	v_mfma_f32_16x16x16_bf16 v[72:75], v[100:101], a[104:105], v[72:75]// 00000000840C: D3E10048 1522D164
	v_fma_f32 v57, v57, s57, -v125                             // 000000008414: D1CB0039 85F47339
	v_fma_f32 v58, v58, s57, -v126                             // 00000000841C: D1CB003A 85F8733A
	v_fma_f32 v59, v59, s57, -v127                             // 000000008424: D1CB003B 85FC733B
	v_mfma_f32_16x16x16_bf16 v[72:75], v[102:103], a[106:107], v[72:75]// 00000000842C: D3E10048 1522D566
	ds_read_b128 a[152:155], v12 offset:6528                   // 000000008434: DBFE1980 9800000C
	ds_read_b128 a[156:159], v12 offset:7040                   // 00000000843C: DBFE1B80 9C00000C
	v_mfma_f32_16x16x16_bf16 v[72:75], v[104:105], a[108:109], v[72:75]// 000000008444: D3E10048 1522D968
	v_exp_f32_e32 v48, v48                                     // 00000000844C: 7E604130
	v_mfma_f32_16x16x16_bf16 v[72:75], v[106:107], a[110:111], v[72:75]// 000000008450: D3E10048 1522DD6A
	v_exp_f32_e32 v49, v49                                     // 000000008458: 7E624131
	v_mfma_f32_16x16x16_bf16 v[76:79], v[92:93], a[112:113], 0 // 00000000845C: D3E1004C 1202E15C
	v_exp_f32_e32 v50, v50                                     // 000000008464: 7E644132
	v_mfma_f32_16x16x16_bf16 v[76:79], v[94:95], a[114:115], v[76:79]// 000000008468: D3E1004C 1532E55E
	ds_read_b64 v[136:137], v19 offset:24320                   // 000000008470: D8EC5F00 88000013
	ds_read_b64 v[138:139], v19 offset:26368                   // 000000008478: D8EC6700 8A000013
	v_mfma_f32_16x16x16_bf16 v[76:79], v[96:97], a[116:117], v[76:79]// 000000008480: D3E1004C 1532E960
	v_exp_f32_e32 v51, v51                                     // 000000008488: 7E664133
	v_mfma_f32_16x16x16_bf16 v[76:79], v[98:99], a[118:119], v[76:79]// 00000000848C: D3E1004C 1532ED62
	ds_read_b64 v[140:141], v19 offset:28416                   // 000000008494: D8EC6F00 8C000013
	ds_read_b64 v[142:143], v19 offset:30464                   // 00000000849C: D8EC7700 8E000013
	v_mfma_f32_16x16x16_bf16 v[76:79], v[100:101], a[120:121], v[76:79]// 0000000084A4: D3E1004C 1532F164
	v_exp_f32_e32 v52, v52                                     // 0000000084AC: 7E684134
	v_mfma_f32_16x16x16_bf16 v[76:79], v[102:103], a[122:123], v[76:79]// 0000000084B0: D3E1004C 1532F566
	v_exp_f32_e32 v53, v53                                     // 0000000084B8: 7E6A4135
	v_mfma_f32_16x16x16_bf16 v[76:79], v[104:105], a[124:125], v[76:79]// 0000000084BC: D3E1004C 1532F968
	v_exp_f32_e32 v54, v54                                     // 0000000084C4: 7E6C4136
	v_mfma_f32_16x16x16_bf16 v[76:79], v[106:107], a[126:127], v[76:79]// 0000000084C8: D3E1004C 1532FD6A
	v_exp_f32_e32 v55, v55                                     // 0000000084D0: 7E6E4137
	v_mfma_f32_16x16x16_bf16 v[80:83], v[92:93], a[128:129], 0 // 0000000084D4: D3E10050 1203015C
	v_exp_f32_e32 v56, v56                                     // 0000000084DC: 7E704138
	v_mfma_f32_16x16x16_bf16 v[80:83], v[94:95], a[130:131], v[80:83]// 0000000084E0: D3E10050 1543055E
	v_exp_f32_e32 v57, v57                                     // 0000000084E8: 7E724139
	v_mfma_f32_16x16x16_bf16 v[80:83], v[96:97], a[132:133], v[80:83]// 0000000084EC: D3E10050 15430960
	v_exp_f32_e32 v58, v58                                     // 0000000084F4: 7E74413A
	v_mfma_f32_16x16x16_bf16 v[80:83], v[98:99], a[134:135], v[80:83]// 0000000084F8: D3E10050 15430D62
	v_exp_f32_e32 v59, v59                                     // 000000008500: 7E76413B
	v_mfma_f32_16x16x16_bf16 v[80:83], v[100:101], a[136:137], v[80:83]// 000000008504: D3E10050 15431164
	v_perm_b32 v144, v49, v48, s64                             // 00000000850C: D1ED0090 01026131
	v_perm_b32 v145, v51, v50, s64                             // 000000008514: D1ED0091 01026533
	v_perm_b32 v146, v53, v52, s64                             // 00000000851C: D1ED0092 01026935
	v_mfma_f32_16x16x16_bf16 v[80:83], v[102:103], a[138:139], v[80:83]// 000000008524: D3E10050 15431566
	v_perm_b32 v147, v55, v54, s64                             // 00000000852C: D1ED0093 01026D37
	v_perm_b32 v148, v57, v56, s64                             // 000000008534: D1ED0094 01027139
	v_perm_b32 v149, v59, v58, s64                             // 00000000853C: D1ED0095 0102753B
	v_mfma_f32_16x16x16_bf16 v[80:83], v[104:105], a[140:141], v[80:83]// 000000008544: D3E10050 15431968
	v_add_u32_e32 v7, s66, v7                                  // 00000000854C: 680E0E42
	v_add_u32_e32 v8, s66, v8                                  // 000000008550: 68101042
	v_mfma_f32_16x16x16_bf16 v[80:83], v[106:107], a[142:143], v[80:83]// 000000008554: D3E10050 15431D6A
	s_waitcnt lgkmcnt(0)                                       // 00000000855C: BF8CC07F
	s_barrier                                                  // 000000008560: BF8A0000
	v_mfma_f32_16x16x16_bf16 v[152:155], v[108:109], v[144:145], v[152:155]// 000000008564: D3E10098 0663216C
	v_subrev_f32_dpp v72, v150, v72 quad_perm:[0,0,0,0] row_mask:0xf bank_mask:0xf// 00000000856C: 069090FA FF000096
	v_subrev_f32_dpp v73, v150, v73 quad_perm:[1,1,1,1] row_mask:0xf bank_mask:0xf// 000000008574: 069292FA FF005596
	v_subrev_f32_dpp v74, v150, v74 quad_perm:[2,2,2,2] row_mask:0xf bank_mask:0xf// 00000000857C: 069494FA FF00AA96
	v_mfma_f32_16x16x16_bf16 v[156:159], v[110:111], v[144:145], v[156:159]// 000000008584: D3E1009C 0673216E
	v_subrev_f32_dpp v75, v150, v75 quad_perm:[3,3,3,3] row_mask:0xf bank_mask:0xf// 00000000858C: 069696FA FF00FF96
	v_subrev_f32_dpp v76, v150, v76 quad_perm:[0,0,0,0] row_mask:0xf bank_mask:0xf// 000000008594: 069898FA FF000096
	v_subrev_f32_dpp v77, v150, v77 quad_perm:[1,1,1,1] row_mask:0xf bank_mask:0xf// 00000000859C: 069A9AFA FF005596
	v_mfma_f32_16x16x16_bf16 v[160:163], v[112:113], v[144:145], v[160:163]// 0000000085A4: D3E100A0 06832170
	v_mul_f32_e32 v72, v48, v72                                // 0000000085AC: 0A909130
	v_mul_f32_e32 v73, v49, v73                                // 0000000085B0: 0A929331
	v_mul_f32_e32 v74, v50, v74                                // 0000000085B4: 0A949532
	v_mfma_f32_16x16x16_bf16 v[164:167], v[114:115], v[144:145], v[164:167]// 0000000085B8: D3E100A4 06932172
	v_mul_f32_e32 v75, v51, v75                                // 0000000085C0: 0A969733
	v_mul_f32_e32 v76, v52, v76                                // 0000000085C4: 0A989934
	v_mul_f32_e32 v77, v53, v77                                // 0000000085C8: 0A9A9B35
	v_mfma_f32_16x16x16_bf16 v[168:171], v[116:117], v[144:145], v[168:171]// 0000000085CC: D3E100A8 06A32174
	v_perm_b32 v72, v73, v72, s64                              // 0000000085D4: D1ED0048 01029149
	v_perm_b32 v73, v75, v74, s64                              // 0000000085DC: D1ED0049 0102954B
	v_perm_b32 v74, v77, v76, s64                              // 0000000085E4: D1ED004A 0102994D
	v_mfma_f32_16x16x16_bf16 v[172:175], v[118:119], v[144:145], v[172:175]// 0000000085EC: D3E100AC 06B32176
	v_mov_b32_dpp v16, v72 quad_perm:[1,0,3,2] row_mask:0xf bank_mask:0xf// 0000000085F4: 7E2002FA FF00B148
	v_perm_b32 v48, v16, v72, v15                              // 0000000085FC: D1ED0030 043E9110
	v_mov_b32_dpp v16, v73 quad_perm:[1,0,3,2] row_mask:0xf bank_mask:0xf// 000000008604: 7E2002FA FF00B149
	v_mfma_f32_16x16x16_bf16 v[176:179], v[120:121], v[144:145], v[176:179]// 00000000860C: D3E100B0 06C32178
	ds_write_b32 v18, v48 offset:17408                         // 000000008614: D81A4400 00003012
	v_mfma_f32_16x16x16_bf16 v[180:183], v[122:123], v[144:145], v[180:183]// 00000000861C: D3E100B4 06D3217A
	v_perm_b32 v49, v16, v73, v15                              // 000000008624: D1ED0031 043E9310
	v_mov_b32_dpp v16, v74 quad_perm:[1,0,3,2] row_mask:0xf bank_mask:0xf// 00000000862C: 7E2002FA FF00B14A
	v_perm_b32 v50, v16, v74, v15                              // 000000008634: D1ED0032 043E9510
	v_mfma_f32_16x16x16_bf16 v[184:187], v[108:109], v[146:147], v[184:187]// 00000000863C: D3E100B8 06E3256C
	ds_write_b32 v18, v49 offset:17952                         // 000000008644: D81A4620 00003112
	v_mfma_f32_16x16x16_bf16 v[188:191], v[110:111], v[146:147], v[188:191]// 00000000864C: D3E100BC 06F3256E
	v_subrev_f32_dpp v78, v150, v78 quad_perm:[2,2,2,2] row_mask:0xf bank_mask:0xf// 000000008654: 069C9CFA FF00AA96
	v_subrev_f32_dpp v79, v150, v79 quad_perm:[3,3,3,3] row_mask:0xf bank_mask:0xf// 00000000865C: 069E9EFA FF00FF96
	v_subrev_f32_dpp v80, v150, v80 quad_perm:[0,0,0,0] row_mask:0xf bank_mask:0xf// 000000008664: 06A0A0FA FF000096
	v_mfma_f32_16x16x16_bf16 v[192:195], v[112:113], v[146:147], v[192:195]// 00000000866C: D3E100C0 07032570
	ds_write_b32 v18, v50 offset:19712                         // 000000008674: D81A4D00 00003212
	v_mfma_f32_16x16x16_bf16 v[196:199], v[114:115], v[146:147], v[196:199]// 00000000867C: D3E100C4 07132572
	v_subrev_f32_dpp v81, v150, v81 quad_perm:[1,1,1,1] row_mask:0xf bank_mask:0xf// 000000008684: 06A2A2FA FF005596
	v_subrev_f32_dpp v82, v150, v82 quad_perm:[2,2,2,2] row_mask:0xf bank_mask:0xf// 00000000868C: 06A4A4FA FF00AA96
	v_subrev_f32_dpp v83, v150, v83 quad_perm:[3,3,3,3] row_mask:0xf bank_mask:0xf// 000000008694: 06A6A6FA FF00FF96
	v_mfma_f32_16x16x16_bf16 v[200:203], v[116:117], v[146:147], v[200:203]// 00000000869C: D3E100C8 07232574
	v_mul_f32_e32 v78, v54, v78                                // 0000000086A4: 0A9C9D36
	v_mul_f32_e32 v79, v55, v79                                // 0000000086A8: 0A9E9F37
	v_mul_f32_e32 v80, v56, v80                                // 0000000086AC: 0AA0A138
	v_mfma_f32_16x16x16_bf16 v[204:207], v[118:119], v[146:147], v[204:207]// 0000000086B0: D3E100CC 07332576
	v_mul_f32_e32 v81, v57, v81                                // 0000000086B8: 0AA2A339
	v_mul_f32_e32 v82, v58, v82                                // 0000000086BC: 0AA4A53A
	v_mul_f32_e32 v83, v59, v83                                // 0000000086C0: 0AA6A73B
	v_mfma_f32_16x16x16_bf16 v[208:211], v[120:121], v[146:147], v[208:211]// 0000000086C4: D3E100D0 07432578
	v_perm_b32 v75, v79, v78, s64                              // 0000000086CC: D1ED004B 01029D4F
	v_perm_b32 v76, v81, v80, s64                              // 0000000086D4: D1ED004C 0102A151
	v_perm_b32 v77, v83, v82, s64                              // 0000000086DC: D1ED004D 0102A553
	v_mfma_f32_16x16x16_bf16 v[212:215], v[122:123], v[146:147], v[212:215]// 0000000086E4: D3E100D4 0753257A
	v_mov_b32_dpp v16, v75 quad_perm:[1,0,3,2] row_mask:0xf bank_mask:0xf// 0000000086EC: 7E2002FA FF00B14B
	v_perm_b32 v51, v16, v75, v15                              // 0000000086F4: D1ED0033 043E9710
	v_mov_b32_dpp v16, v76 quad_perm:[1,0,3,2] row_mask:0xf bank_mask:0xf// 0000000086FC: 7E2002FA FF00B14C
	v_mfma_f32_16x16x16_bf16 v[216:219], v[108:109], v[148:149], v[216:219]// 000000008704: D3E100D8 0763296C
	ds_write_b32 v18, v51 offset:20256                         // 00000000870C: D81A4F20 00003312
	v_mfma_f32_16x16x16_bf16 v[220:223], v[110:111], v[148:149], v[220:223]// 000000008714: D3E100DC 0773296E
	v_perm_b32 v52, v16, v76, v15                              // 00000000871C: D1ED0034 043E9910
	v_mov_b32_dpp v16, v77 quad_perm:[1,0,3,2] row_mask:0xf bank_mask:0xf// 000000008724: 7E2002FA FF00B14D
	v_perm_b32 v53, v16, v77, v15                              // 00000000872C: D1ED0035 043E9B10
	v_mfma_f32_16x16x16_bf16 v[224:227], v[112:113], v[148:149], v[224:227]// 000000008734: D3E100E0 07832970
	ds_write_b32 v18, v52 offset:22016                         // 00000000873C: D81A5600 00003412
	ds_write_b32 v18, v53 offset:22560                         // 000000008744: D81A5820 00003512
	v_mfma_f32_16x16x16_bf16 v[228:231], v[114:115], v[148:149], v[228:231]// 00000000874C: D3E100E4 07932972
	v_mfma_f32_16x16x16_bf16 v[232:235], v[116:117], v[148:149], v[232:235]// 000000008754: D3E100E8 07A32974
	ds_write_b32 v13, v84 offset:4352                          // 00000000875C: D81A1100 0000540D
	ds_write_b32 v13, v85 offset:5408                          // 000000008764: D81A1520 0000550D
	v_mfma_f32_16x16x16_bf16 v[236:239], v[118:119], v[148:149], v[236:239]// 00000000876C: D3E100EC 07B32976
	v_mfma_f32_16x16x16_bf16 v[240:243], v[120:121], v[148:149], v[240:243]// 000000008774: D3E100F0 07C32978
	ds_write_b32 v13, v86 offset:4480                          // 00000000877C: D81A1180 0000560D
	ds_write_b32 v13, v87 offset:5536                          // 000000008784: D81A15A0 0000570D
	v_mfma_f32_16x16x16_bf16 v[244:247], v[122:123], v[148:149], v[244:247]// 00000000878C: D3E100F4 07D3297A
	s_nop 0                                                    // 000000008794: BF800000
	s_nop 0                                                    // 000000008798: BF800000
	s_nop 0                                                    // 00000000879C: BF800000
	s_barrier                                                  // 0000000087A0: BF8A0000
	v_mfma_f32_16x16x16_bf16 a[160:163], a[144:145], v[72:73], a[160:163]// 0000000087A4: D3E180A0 0E829190
	ds_read_b32 v124, v21 offset:51200                         // 0000000087AC: D86CC800 7C000015
	ds_read_b32 v150, v21 offset:51456                         // 0000000087B4: D86CC900 96000015
	v_mfma_f32_16x16x16_bf16 a[164:167], a[146:147], v[72:73], a[164:167]// 0000000087BC: D3E180A4 0E929192
	buffer_atomic_add_f32 v136, v7, s[32:35], 0 offen          // 0000000087C4: E1341000 80088807
	v_mfma_f32_16x16x16_bf16 a[168:171], a[148:149], v[72:73], a[168:171]// 0000000087CC: D3E180A8 0EA29194
	s_waitcnt lgkmcnt(6)                                       // 0000000087D4: BF8CC67F
	s_barrier                                                  // 0000000087D8: BF8A0000
	v_mfma_f32_16x16x16_bf16 a[172:175], a[150:151], v[72:73], a[172:175]// 0000000087DC: D3E180AC 0EB29196
	v_mfma_f32_16x16x16_bf16 a[176:179], a[152:153], v[72:73], a[176:179]// 0000000087E4: D3E180B0 0EC29198
	ds_read_b128 v[48:51], v17 offset:17408                    // 0000000087EC: D9FE4400 30000011
	v_mfma_f32_16x16x16_bf16 a[180:183], a[154:155], v[72:73], a[180:183]// 0000000087F4: D3E180B4 0ED2919A
	v_mfma_f32_16x16x16_bf16 a[184:187], a[156:157], v[72:73], a[184:187]// 0000000087FC: D3E180B8 0EE2919C
	ds_read_b128 v[52:55], v17 offset:18560                    // 000000008804: D9FE4880 34000011
	v_mfma_f32_16x16x16_bf16 a[188:191], a[158:159], v[72:73], a[188:191]// 00000000880C: D3E180BC 0EF2919E
	buffer_atomic_add_f32 v137, v8, s[32:35], 0 offen          // 000000008814: E1341000 80088908
	v_mfma_f32_16x16x16_bf16 a[192:195], a[144:145], v[74:75], a[192:195]// 00000000881C: D3E180C0 0F029590
	ds_read_b128 v[56:59], v17 offset:19712                    // 000000008824: D9FE4D00 38000011
	v_mfma_f32_16x16x16_bf16 a[196:199], a[146:147], v[74:75], a[196:199]// 00000000882C: D3E180C4 0F129592
	v_mfma_f32_16x16x16_bf16 a[200:203], a[148:149], v[74:75], a[200:203]// 000000008834: D3E180C8 0F229594
	ds_read_b128 v[60:63], v17 offset:20864                    // 00000000883C: D9FE5180 3C000011
	v_mfma_f32_16x16x16_bf16 a[204:207], a[150:151], v[74:75], a[204:207]// 000000008844: D3E180CC 0F329596
	v_mfma_f32_16x16x16_bf16 a[208:211], a[152:153], v[74:75], a[208:211]// 00000000884C: D3E180D0 0F429598
	ds_read_b128 v[64:67], v17 offset:22016                    // 000000008854: D9FE5600 40000011
	v_mfma_f32_16x16x16_bf16 a[212:215], a[154:155], v[74:75], a[212:215]// 00000000885C: D3E180D4 0F52959A
	buffer_atomic_add_f32 v138, v7, s[32:35], 0 offen offset:128// 000000008864: E1341080 80088A07
	v_mfma_f32_16x16x16_bf16 a[216:219], a[156:157], v[74:75], a[216:219]// 00000000886C: D3E180D8 0F62959C
	ds_read_b128 v[68:71], v17 offset:23168                    // 000000008874: D9FE5A80 44000011
	v_mfma_f32_16x16x16_bf16 a[220:223], a[158:159], v[74:75], a[220:223]// 00000000887C: D3E180DC 0F72959E
	v_mfma_f32_16x16x16_bf16 a[224:227], a[144:145], v[76:77], a[224:227]// 000000008884: D3E180E0 0F829990
	ds_write_b32 v13, v88 offset:13056                         // 00000000888C: D81A3300 0000580D
	v_mfma_f32_16x16x16_bf16 a[228:231], a[146:147], v[76:77], a[228:231]// 000000008894: D3E180E4 0F929992
	v_mfma_f32_16x16x16_bf16 a[232:235], a[148:149], v[76:77], a[232:235]// 00000000889C: D3E180E8 0FA29994
	ds_write_b32 v13, v89 offset:14112                         // 0000000088A4: D81A3720 0000590D
	v_mfma_f32_16x16x16_bf16 a[236:239], a[150:151], v[76:77], a[236:239]// 0000000088AC: D3E180EC 0FB29996
	buffer_atomic_add_f32 v139, v8, s[32:35], 0 offen offset:128// 0000000088B4: E1341080 80088B08
	v_mfma_f32_16x16x16_bf16 a[240:243], a[152:153], v[76:77], a[240:243]// 0000000088BC: D3E180F0 0FC29998
	ds_write_b32 v13, v90 offset:13184                         // 0000000088C4: D81A3380 00005A0D
	v_mfma_f32_16x16x16_bf16 a[244:247], a[154:155], v[76:77], a[244:247]// 0000000088CC: D3E180F4 0FD2999A
	v_mfma_f32_16x16x16_bf16 a[248:251], a[156:157], v[76:77], a[248:251]// 0000000088D4: D3E180F8 0FE2999C
	ds_write_b32 v13, v91 offset:14240                         // 0000000088DC: D81A37A0 00005B0D
	v_mfma_f32_16x16x16_bf16 a[252:255], a[158:159], v[76:77], a[252:255]// 0000000088E4: D3E180FC 0FF2999E
	s_waitcnt vmcnt(8) lgkmcnt(4)                              // 0000000088EC: BF8C0478
	s_barrier                                                  // 0000000088F0: BF8A0000
	v_mfma_f32_16x16x16_bf16 v[128:131], v[48:49], a[48:49], 0 // 0000000088F4: D3E10080 12026130
	ds_read_b128 a[144:147], v10                               // 0000000088FC: DBFE0000 9000000A
	v_mov_b32_e32 v36, 0                                       // 000000008904: 7E480280
	s_mov_b64 exec, s[82:83]                                   // 000000008908: BEFE0152
	buffer_load_dword v36, v1, s[8:11], 0 idxen                // 00000000890C: E0502000 80022401
	s_mov_b32 exec_lo, -1                                      // 000000008914: BEFE00C1
	s_mov_b32 exec_hi, -1                                      // 000000008918: BEFF00C1
	v_mfma_f32_16x16x16_bf16 v[128:131], v[50:51], a[52:53], v[128:131]// 00000000891C: D3E10080 16026932
	v_mul_f32_e32 v124, s48, v124                              // 000000008924: 0AF8F830
	s_nop 0                                                    // 000000008928: BF800000
	v_mfma_f32_16x16x16_bf16 v[128:131], v[52:53], a[56:57], v[128:131]// 00000000892C: D3E10080 16027134
	ds_read_b128 a[148:151], v10 offset:512                    // 000000008934: DBFE0200 9400000A
	v_mov_b32_e32 v37, 0                                       // 00000000893C: 7E4A0280
	s_mov_b64 exec, s[82:83]                                   // 000000008940: BEFE0152
	buffer_load_dword v37, v2, s[8:11], 0 idxen                // 000000008944: E0502000 80022502
	s_mov_b32 exec_lo, -1                                      // 00000000894C: BEFE00C1
	s_mov_b32 exec_hi, -1                                      // 000000008950: BEFF00C1
	v_mfma_f32_16x16x16_bf16 v[128:131], v[54:55], a[60:61], v[128:131]// 000000008954: D3E10080 16027936
	v_mfma_f32_16x16x16_bf16 v[128:131], v[56:57], a[64:65], v[128:131]// 00000000895C: D3E10080 16028138
	ds_read_b128 a[152:155], v10 offset:2176                   // 000000008964: DBFE0880 9800000A
	v_mov_b32_e32 v38, 0                                       // 00000000896C: 7E4C0280
	s_mov_b64 exec, s[82:83]                                   // 000000008970: BEFE0152
	buffer_load_dword v38, v3, s[8:11], 0 idxen                // 000000008974: E0502000 80022603
	s_mov_b32 exec_lo, -1                                      // 00000000897C: BEFE00C1
	s_mov_b32 exec_hi, -1                                      // 000000008980: BEFF00C1
	v_mfma_f32_16x16x16_bf16 v[128:131], v[58:59], a[68:69], v[128:131]// 000000008984: D3E10080 1602893A
	v_perm_b32 v84, v33, v32, s63                              // 00000000898C: D1ED0054 00FE4121
	v_perm_b32 v85, v33, v32, s64                              // 000000008994: D1ED0055 01024121
	v_mfma_f32_16x16x16_bf16 v[128:131], v[60:61], a[72:73], v[128:131]// 00000000899C: D3E10080 1602913C
	ds_read_b128 a[156:159], v10 offset:2688                   // 0000000089A4: DBFE0A80 9C00000A
	v_mov_b32_e32 v39, 0                                       // 0000000089AC: 7E4E0280
	s_mov_b64 exec, s[82:83]                                   // 0000000089B0: BEFE0152
	buffer_load_dword v39, v4, s[8:11], 0 idxen                // 0000000089B4: E0502000 80022704
	s_mov_b32 exec_lo, -1                                      // 0000000089BC: BEFE00C1
	s_mov_b32 exec_hi, -1                                      // 0000000089C0: BEFF00C1
	v_mfma_f32_16x16x16_bf16 v[128:131], v[62:63], a[76:77], v[128:131]// 0000000089C4: D3E10080 1602993E
	v_perm_b32 v86, v35, v34, s63                              // 0000000089CC: D1ED0056 00FE4523
	v_perm_b32 v87, v35, v34, s64                              // 0000000089D4: D1ED0057 01024523
	v_mfma_f32_16x16x16_bf16 v[128:131], v[64:65], a[80:81], v[128:131]// 0000000089DC: D3E10080 1602A140
	ds_read_b128 v[92:95], v10 offset:8704                     // 0000000089E4: D9FE2200 5C00000A
	v_mov_b32_e32 v44, 0                                       // 0000000089EC: 7E580280
	s_mov_b64 exec, s[82:83]                                   // 0000000089F0: BEFE0152
	buffer_load_dword v44, v252, s[20:23], 0 idxen             // 0000000089F4: E0502000 80052CFC
	s_mov_b32 exec_lo, -1                                      // 0000000089FC: BEFE00C1
	s_mov_b32 exec_hi, -1                                      // 000000008A00: BEFF00C1
	v_mfma_f32_16x16x16_bf16 v[128:131], v[66:67], a[84:85], v[128:131]// 000000008A04: D3E10080 1602A942
	v_perm_b32 v88, v41, v40, s63                              // 000000008A0C: D1ED0058 00FE5129
	v_perm_b32 v89, v41, v40, s64                              // 000000008A14: D1ED0059 01025129
	v_mfma_f32_16x16x16_bf16 v[128:131], v[68:69], a[88:89], v[128:131]// 000000008A1C: D3E10080 1602B144
	ds_read_b128 v[96:99], v10 offset:9216                     // 000000008A24: D9FE2400 6000000A
	v_mov_b32_e32 v45, 0                                       // 000000008A2C: 7E5A0280
	s_mov_b64 exec, s[82:83]                                   // 000000008A30: BEFE0152
	buffer_load_dword v45, v253, s[20:23], 0 idxen             // 000000008A34: E0502000 80052DFD
	s_mov_b32 exec_lo, -1                                      // 000000008A3C: BEFE00C1
	s_mov_b32 exec_hi, -1                                      // 000000008A40: BEFF00C1
	v_mfma_f32_16x16x16_bf16 v[128:131], v[70:71], a[92:93], v[128:131]// 000000008A44: D3E10080 1602B946
	v_perm_b32 v90, v43, v42, s63                              // 000000008A4C: D1ED005A 00FE552B
	v_perm_b32 v91, v43, v42, s64                              // 000000008A54: D1ED005B 0102552B
	v_mfma_f32_16x16x16_bf16 v[132:135], v[48:49], a[50:51], 0 // 000000008A5C: D3E10084 12026530
	ds_read_b128 v[100:103], v10 offset:10880                  // 000000008A64: D9FE2A80 6400000A
	v_mov_b32_e32 v46, 0                                       // 000000008A6C: 7E5C0280
	s_mov_b64 exec, s[82:83]                                   // 000000008A70: BEFE0152
	buffer_load_dword v46, v254, s[20:23], 0 idxen             // 000000008A74: E0502000 80052EFE
	s_mov_b32 exec_lo, -1                                      // 000000008A7C: BEFE00C1
	s_mov_b32 exec_hi, -1                                      // 000000008A80: BEFF00C1
	v_mfma_f32_16x16x16_bf16 v[132:135], v[50:51], a[54:55], v[132:135]// 000000008A84: D3E10084 16126D32
	v_mov_b32_dpp v127, v124 quad_perm:[3,3,3,3] row_mask:0xf bank_mask:0xf// 000000008A8C: 7EFE02FA FF00FF7C
	v_mov_b32_dpp v126, v124 quad_perm:[2,2,2,2] row_mask:0xf bank_mask:0xf// 000000008A94: 7EFC02FA FF00AA7C
	v_mfma_f32_16x16x16_bf16 v[132:135], v[52:53], a[58:59], v[132:135]// 000000008A9C: D3E10084 16127534
	ds_read_b128 v[104:107], v10 offset:11392                  // 000000008AA4: D9FE2C80 6800000A
	v_mov_b32_e32 v47, 0                                       // 000000008AAC: 7E5E0280
	s_mov_b64 exec, s[82:83]                                   // 000000008AB0: BEFE0152
	buffer_load_dword v47, v255, s[20:23], 0 idxen             // 000000008AB4: E0502000 80052FFF
	s_mov_b32 exec_lo, -1                                      // 000000008ABC: BEFE00C1
	s_mov_b32 exec_hi, -1                                      // 000000008AC0: BEFF00C1
	v_mfma_f32_16x16x16_bf16 v[132:135], v[54:55], a[62:63], v[132:135]// 000000008AC4: D3E10084 16127D36
	v_mov_b32_dpp v125, v124 quad_perm:[1,1,1,1] row_mask:0xf bank_mask:0xf// 000000008ACC: 7EFA02FA FF00557C
	v_mov_b32_dpp v124, v124 quad_perm:[0,0,0,0] row_mask:0xf bank_mask:0xf// 000000008AD4: 7EF802FA FF00007C
	s_add_u32 s60, 64, s59                                     // 000000008ADC: 803C3BC0
	v_mfma_f32_16x16x16_bf16 v[132:135], v[56:57], a[66:67], v[132:135]// 000000008AE0: D3E10084 16128538
	buffer_load_dword v9, s[24:27], 0 idxen lds                // 000000008AE8: E0512000 80060009
	v_mfma_f32_16x16x16_bf16 v[132:135], v[58:59], a[70:71], v[132:135]// 000000008AF0: D3E10084 16128D3A
	s_cmp_lt_u32 s60, s58                                      // 000000008AF8: BF0A3A3C
	s_cselect_b32 s68, s68, 0                                  // 000000008AFC: 85448044
	s_cselect_b32 s100, s100, 0                                // 000000008B00: 85648064
	s_cselect_b32 s69, s69, 0                                  // 000000008B04: 85458045
	v_mfma_f32_16x16x16_bf16 v[132:135], v[60:61], a[74:75], v[132:135]// 000000008B08: D3E10084 1612953C
	v_add_u32_e32 v1, s68, v1                                  // 000000008B10: 68020244
	v_add_u32_e32 v2, s68, v2                                  // 000000008B14: 68040444
	v_add_u32_e32 v3, s68, v3                                  // 000000008B18: 68060644
	v_add_u32_e32 v4, s68, v4                                  // 000000008B1C: 68080844
	v_mfma_f32_16x16x16_bf16 v[132:135], v[62:63], a[78:79], v[132:135]// 000000008B20: D3E10084 16129D3E
	v_add_u32_e32 v252, s100, v252                             // 000000008B28: 69F9F864
	v_add_u32_e32 v253, s100, v253                             // 000000008B2C: 69FBFA64
	v_add_u32_e32 v254, s100, v254                             // 000000008B30: 69FDFC64
	v_add_u32_e32 v255, s100, v255                             // 000000008B34: 69FFFE64
	v_mfma_f32_16x16x16_bf16 v[132:135], v[64:65], a[82:83], v[132:135]// 000000008B38: D3E10084 1612A540
	s_mov_b32 m0, s80                                          // 000000008B40: BEFC0050
	v_add_u32_e32 v9, s69, v9                                  // 000000008B44: 68121245
	v_mfma_f32_16x16x16_bf16 v[132:135], v[66:67], a[86:87], v[132:135]// 000000008B48: D3E10084 1612AD42
	s_cmp_ge_u32 s59, s73                                      // 000000008B50: BF09493B
	s_cselect_b32 s66, s67, s66                                // 000000008B54: 85424243
	v_mfma_f32_16x16x16_bf16 v[132:135], v[68:69], a[90:91], v[132:135]// 000000008B58: D3E10084 1612B544
	s_addk_i32 s59, 0x10                                       // 000000008B60: B73B0010
	s_nop 0                                                    // 000000008B64: BF800000
	s_cmp_lt_i32 s59, s58                                      // 000000008B68: BF043A3B
	v_mfma_f32_16x16x16_bf16 v[132:135], v[70:71], a[94:95], v[132:135]// 000000008B6C: D3E10084 1612BD46
	s_cbranch_scc0 label_1076                                  // 000000008B74: BF84FD0E
	s_waitcnt lgkmcnt(0)                                       // 000000008B78: BF8CC07F
	s_barrier                                                  // 000000008B7C: BF8A0000
	v_mfma_f32_16x16x16_bf16 v[48:51], a[144:145], a[0:1], 0   // 000000008B80: D3E10030 1A020190
	v_mul_f32_e32 v128, s47, v128                              // 000000008B88: 0B01002F
	v_mul_f32_e32 v129, s47, v129                              // 000000008B8C: 0B03022F
	v_mfma_f32_16x16x16_bf16 v[48:51], a[146:147], a[2:3], v[48:51]// 000000008B90: D3E10030 1CC20592
	ds_write_b32 v11, v40 offset:8704                          // 000000008B98: D81A2200 0000280B
	ds_write_b32 v11, v41 offset:9760                          // 000000008BA0: D81A2620 0000290B
	v_mfma_f32_16x16x16_bf16 v[48:51], a[148:149], a[4:5], v[48:51]// 000000008BA8: D3E10030 1CC20994
	v_mul_f32_e32 v130, s47, v130                              // 000000008BB0: 0B05042F
	v_mul_f32_e32 v131, s47, v131                              // 000000008BB4: 0B07062F
	v_mfma_f32_16x16x16_bf16 v[48:51], a[150:151], a[6:7], v[48:51]// 000000008BB8: D3E10030 1CC20D96
	ds_write_b32 v11, v42 offset:8832                          // 000000008BC0: D81A2280 00002A0B
	ds_write_b32 v11, v43 offset:9888                          // 000000008BC8: D81A26A0 00002B0B
	v_mfma_f32_16x16x16_bf16 v[48:51], a[152:153], a[8:9], v[48:51]// 000000008BD0: D3E10030 1CC21198
	v_mul_f32_e32 v132, s47, v132                              // 000000008BD8: 0B09082F
	v_mul_f32_e32 v133, s47, v133                              // 000000008BDC: 0B0B0A2F
	v_mfma_f32_16x16x16_bf16 v[48:51], a[154:155], a[10:11], v[48:51]// 000000008BE0: D3E10030 1CC2159A
	ds_write_b64 v20, v[128:129] offset:24320                  // 000000008BE8: D89A5F00 00008014
	v_mfma_f32_16x16x16_bf16 v[48:51], a[156:157], a[12:13], v[48:51]// 000000008BF0: D3E10030 1CC2199C
	v_mul_f32_e32 v134, s47, v134                              // 000000008BF8: 0B0D0C2F
	v_mul_f32_e32 v135, s47, v135                              // 000000008BFC: 0B0F0E2F
	v_mfma_f32_16x16x16_bf16 v[48:51], a[158:159], a[14:15], v[48:51]// 000000008C00: D3E10030 1CC21D9E
	ds_write_b64 v20, v[130:131] offset:24832                  // 000000008C08: D89A6100 00008214
	v_mfma_f32_16x16x16_bf16 v[52:55], a[144:145], a[16:17], 0 // 000000008C10: D3E10034 1A022190
	buffer_atomic_add_f32 v140, v7, s[32:35], 0 offen offset:256// 000000008C18: E1341100 80088C07
	v_mfma_f32_16x16x16_bf16 v[52:55], a[146:147], a[18:19], v[52:55]// 000000008C20: D3E10034 1CD22592
	ds_write_b64 v20, v[132:133] offset:25344                  // 000000008C28: D89A6300 00008414
	v_mfma_f32_16x16x16_bf16 v[52:55], a[148:149], a[20:21], v[52:55]// 000000008C30: D3E10034 1CD22994
	v_mfma_f32_16x16x16_bf16 v[52:55], a[150:151], a[22:23], v[52:55]// 000000008C38: D3E10034 1CD22D96
	ds_write_b64 v20, v[134:135] offset:25856                  // 000000008C40: D89A6500 00008614
	v_mfma_f32_16x16x16_bf16 v[52:55], a[152:153], a[24:25], v[52:55]// 000000008C48: D3E10034 1CD23198
	buffer_atomic_add_f32 v141, v8, s[32:35], 0 offen offset:256// 000000008C50: E1341100 80088D08
	v_mfma_f32_16x16x16_bf16 v[52:55], a[154:155], a[26:27], v[52:55]// 000000008C58: D3E10034 1CD2359A
	ds_read_b128 v[108:111], v12 offset:13056                  // 000000008C60: D9FE3300 6C00000C
	ds_write_b32 v11, v32                                      // 000000008C68: D81A0000 0000200B
	v_mfma_f32_16x16x16_bf16 v[52:55], a[156:157], a[28:29], v[52:55]// 000000008C70: D3E10034 1CD2399C
	v_mfma_f32_16x16x16_bf16 v[52:55], a[158:159], a[30:31], v[52:55]// 000000008C78: D3E10034 1CD23D9E
	v_mfma_f32_16x16x16_bf16 v[56:59], a[144:145], a[32:33], 0 // 000000008C80: D3E10038 1A024190
	ds_read_b128 v[112:115], v12 offset:13568                  // 000000008C88: D9FE3500 7000000C
	ds_write_b32 v11, v33 offset:1056                          // 000000008C90: D81A0420 0000210B
	v_mfma_f32_16x16x16_bf16 v[56:59], a[146:147], a[34:35], v[56:59]// 000000008C98: D3E10038 1CE24592
	buffer_atomic_add_f32 v142, v7, s[32:35], 0 offen offset:384// 000000008CA0: E1341180 80088E07
	v_mfma_f32_16x16x16_bf16 v[56:59], a[148:149], a[36:37], v[56:59]// 000000008CA8: D3E10038 1CE24994
	v_mfma_f32_16x16x16_bf16 v[56:59], a[150:151], a[38:39], v[56:59]// 000000008CB0: D3E10038 1CE24D96
	ds_read_b128 v[116:119], v12 offset:15232                  // 000000008CB8: D9FE3B80 7400000C
	ds_write_b32 v11, v34 offset:128                           // 000000008CC0: D81A0080 0000220B
	v_mfma_f32_16x16x16_bf16 v[56:59], a[152:153], a[40:41], v[56:59]// 000000008CC8: D3E10038 1CE25198
	v_mfma_f32_16x16x16_bf16 v[56:59], a[154:155], a[42:43], v[56:59]// 000000008CD0: D3E10038 1CE2559A
	buffer_atomic_add_f32 v143, v8, s[32:35], 0 offen offset:384// 000000008CD8: E1341180 80088F08
	v_mfma_f32_16x16x16_bf16 v[56:59], a[156:157], a[44:45], v[56:59]// 000000008CE0: D3E10038 1CE2599C
	ds_read_b128 v[120:123], v12 offset:15744                  // 000000008CE8: D9FE3D80 7800000C
	ds_write_b32 v11, v35 offset:1184                          // 000000008CF0: D81A04A0 0000230B
	v_mfma_f32_16x16x16_bf16 v[56:59], a[158:159], a[46:47], v[56:59]// 000000008CF8: D3E10038 1CE25D9E
	s_cmp_eq_i32 s88, 0                                        // 000000008D00: BF008058
	s_cbranch_scc1 label_1465                                  // 000000008D04: BF85008F
	s_cmp_lt_i32 s74, 12                                       // 000000008D08: BF048C4A
	s_cbranch_scc0 label_1410                                  // 000000008D0C: BF84003D
	s_lshl_b32 s60, s74, 4                                     // 000000008D10: 8E3C844A
	v_sub_i32 v28, v25, s60                                    // 000000008D14: D29D001C 00007919
	s_mov_b32 s61, 0                                           // 000000008D1C: BEBD0080
	v_add_i32 v29, v28, s61                                    // 000000008D20: D29C001D 00007B1C
	v_cmp_gt_i32_e64 s[60:61], v29, 0                          // 000000008D28: D0C4003C 0001011D
	v_cmp_gt_i32_e64 s[70:71], v29, 1                          // 000000008D30: D0C40046 0001031D
	v_cndmask_b32_e64 v48, v48, v151, s[60:61]                 // 000000008D38: D1000030 00F32F30
	v_cndmask_b32_e64 v49, v49, v151, s[70:71]                 // 000000008D40: D1000031 011B2F31
	v_cmp_gt_i32_e64 s[60:61], v29, 2                          // 000000008D48: D0C4003C 0001051D
	v_cmp_gt_i32_e64 s[70:71], v29, 3                          // 000000008D50: D0C40046 0001071D
	v_cndmask_b32_e64 v50, v50, v151, s[60:61]                 // 000000008D58: D1000032 00F32F32
	v_cndmask_b32_e64 v51, v51, v151, s[70:71]                 // 000000008D60: D1000033 011B2F33
	s_mov_b32 s61, 64                                          // 000000008D68: BEBD00C0
	v_add_i32 v29, v28, s61                                    // 000000008D6C: D29C001D 00007B1C
	v_cmp_gt_i32_e64 s[60:61], v29, 0                          // 000000008D74: D0C4003C 0001011D
	v_cmp_gt_i32_e64 s[70:71], v29, 1                          // 000000008D7C: D0C40046 0001031D
	v_cndmask_b32_e64 v52, v52, v151, s[60:61]                 // 000000008D84: D1000034 00F32F34
	v_cndmask_b32_e64 v53, v53, v151, s[70:71]                 // 000000008D8C: D1000035 011B2F35
	v_cmp_gt_i32_e64 s[60:61], v29, 2                          // 000000008D94: D0C4003C 0001051D
	v_cmp_gt_i32_e64 s[70:71], v29, 3                          // 000000008D9C: D0C40046 0001071D
	v_cndmask_b32_e64 v54, v54, v151, s[60:61]                 // 000000008DA4: D1000036 00F32F36
	v_cndmask_b32_e64 v55, v55, v151, s[70:71]                 // 000000008DAC: D1000037 011B2F37
	s_mov_b32 s61, 0x80                                        // 000000008DB4: BEBD00FF 00000080
	v_add_i32 v29, v28, s61                                    // 000000008DBC: D29C001D 00007B1C
	v_cmp_gt_i32_e64 s[60:61], v29, 0                          // 000000008DC4: D0C4003C 0001011D
	v_cmp_gt_i32_e64 s[70:71], v29, 1                          // 000000008DCC: D0C40046 0001031D
	v_cndmask_b32_e64 v56, v56, v151, s[60:61]                 // 000000008DD4: D1000038 00F32F38
	v_cndmask_b32_e64 v57, v57, v151, s[70:71]                 // 000000008DDC: D1000039 011B2F39
	v_cmp_gt_i32_e64 s[60:61], v29, 2                          // 000000008DE4: D0C4003C 0001051D
	v_cmp_gt_i32_e64 s[70:71], v29, 3                          // 000000008DEC: D0C40046 0001071D
	v_cndmask_b32_e64 v58, v58, v151, s[60:61]                 // 000000008DF4: D100003A 00F32F3A
	v_cndmask_b32_e64 v59, v59, v151, s[70:71]                 // 000000008DFC: D100003B 011B2F3B

0000000000008e04 <label_1410>:
	s_cmp_lt_i32 s84, 0xc0                                     // 000000008E04: BF04FF54 000000C0
	s_cbranch_scc0 label_1465                                  // 000000008E0C: BF84004D
	s_cmp_le_i32 s84, 64                                       // 000000008E10: BF05C054
	s_cbranch_scc1 label_141C                                  // 000000008E14: BF850007
	s_cmp_le_i32 s84, 0x80                                     // 000000008E18: BF05FF54 00000080
	s_cbranch_scc1 label_1434                                  // 000000008E20: BF850017
	s_cmp_lt_i32 s84, 0xc0                                     // 000000008E24: BF04FF54 000000C0
	s_cbranch_scc1 label_144C                                  // 000000008E2C: BF85002C
	s_branch label_1465                                        // 000000008E30: BF820044

0000000000008e34 <label_141C>:
	s_mov_b32 s60, 0                                           // 000000008E34: BEBC0080
	v_and_b32_e32 v28, 15, v0                                  // 000000008E38: 2638008F
	v_add_u32_e64 v28, v28, s60                                // 000000008E3C: D134001C 0000791C
	v_mul_i32_i24_e64 v29, s46, 16                             // 000000008E44: D106001D 0001202E
	v_add_u32_e32 v28, v28, v29                                // 000000008E4C: 68383B1C
	v_cmp_lt_u32_e64 s[60:61], v28, s84                        // 000000008E50: D0C9003C 0000A91C
	s_nop 1                                                    // 000000008E58: BF800001
	v_cndmask_b32_e64 v48, v151, v48, s[60:61]                 // 000000008E5C: D1000030 00F26197
	v_cndmask_b32_e64 v49, v151, v49, s[60:61]                 // 000000008E64: D1000031 00F26397
	v_cndmask_b32_e64 v50, v151, v50, s[60:61]                 // 000000008E6C: D1000032 00F26597
	v_cndmask_b32_e64 v51, v151, v51, s[60:61]                 // 000000008E74: D1000033 00F26797
	s_branch label_1447                                        // 000000008E7C: BF820013

0000000000008e80 <label_1434>:
	s_mov_b32 s60, 64                                          // 000000008E80: BEBC00C0
	v_and_b32_e32 v28, 15, v0                                  // 000000008E84: 2638008F
	v_add_u32_e64 v28, v28, s60                                // 000000008E88: D134001C 0000791C
	v_mul_i32_i24_e64 v29, s46, 16                             // 000000008E90: D106001D 0001202E
	v_add_u32_e32 v28, v28, v29                                // 000000008E98: 68383B1C
	v_cmp_lt_u32_e64 s[60:61], v28, s84                        // 000000008E9C: D0C9003C 0000A91C
	s_nop 1                                                    // 000000008EA4: BF800001
	v_cndmask_b32_e64 v52, v151, v52, s[60:61]                 // 000000008EA8: D1000034 00F26997
	v_cndmask_b32_e64 v53, v151, v53, s[60:61]                 // 000000008EB0: D1000035 00F26B97
	v_cndmask_b32_e64 v54, v151, v54, s[60:61]                 // 000000008EB8: D1000036 00F26D97
	v_cndmask_b32_e64 v55, v151, v55, s[60:61]                 // 000000008EC0: D1000037 00F26F97
	s_branch label_1460                                        // 000000008EC8: BF820019

0000000000008ecc <label_1447>:
	v_mov_b32_e32 v52, v151                                    // 000000008ECC: 7E680397
	v_mov_b32_e32 v53, v151                                    // 000000008ED0: 7E6A0397
	v_mov_b32_e32 v54, v151                                    // 000000008ED4: 7E6C0397
	v_mov_b32_e32 v55, v151                                    // 000000008ED8: 7E6E0397
	s_branch label_1460                                        // 000000008EDC: BF820014

0000000000008ee0 <label_144C>:
	s_mov_b32 s60, 0x80                                        // 000000008EE0: BEBC00FF 00000080
	v_and_b32_e32 v28, 15, v0                                  // 000000008EE8: 2638008F
	v_add_u32_e64 v28, v28, s60                                // 000000008EEC: D134001C 0000791C
	v_mul_i32_i24_e64 v29, s46, 16                             // 000000008EF4: D106001D 0001202E
	v_add_u32_e32 v28, v28, v29                                // 000000008EFC: 68383B1C
	v_cmp_lt_u32_e64 s[60:61], v28, s84                        // 000000008F00: D0C9003C 0000A91C
	s_nop 1                                                    // 000000008F08: BF800001
	v_cndmask_b32_e64 v56, v151, v56, s[60:61]                 // 000000008F0C: D1000038 00F27197
	v_cndmask_b32_e64 v57, v151, v57, s[60:61]                 // 000000008F14: D1000039 00F27397
	v_cndmask_b32_e64 v58, v151, v58, s[60:61]                 // 000000008F1C: D100003A 00F27597
	v_cndmask_b32_e64 v59, v151, v59, s[60:61]                 // 000000008F24: D100003B 00F27797
	s_branch label_1465                                        // 000000008F2C: BF820005

0000000000008f30 <label_1460>:
	v_mov_b32_e32 v56, v151                                    // 000000008F30: 7E700397
	v_mov_b32_e32 v57, v151                                    // 000000008F34: 7E720397
	v_mov_b32_e32 v58, v151                                    // 000000008F38: 7E740397
	v_mov_b32_e32 v59, v151                                    // 000000008F3C: 7E760397
	s_branch label_1465                                        // 000000008F40: BF820000

0000000000008f44 <label_1465>:
	s_addk_i32 s74, 0x1                                        // 000000008F44: B74A0001
	s_waitcnt lgkmcnt(8)                                       // 000000008F48: BF8CC87F
	s_barrier                                                  // 000000008F4C: BF8A0000
	v_mfma_f32_16x16x16_bf16 v[72:75], v[92:93], a[96:97], 0   // 000000008F50: D3E10048 1202C15C
	v_fma_f32 v48, v48, s57, -v124                             // 000000008F58: D1CB0030 85F07330
	v_fma_f32 v49, v49, s57, -v125                             // 000000008F60: D1CB0031 85F47331
	v_fma_f32 v50, v50, s57, -v126                             // 000000008F68: D1CB0032 85F87332
	v_mfma_f32_16x16x16_bf16 v[72:75], v[94:95], a[98:99], v[72:75]// 000000008F70: D3E10048 1522C55E
	ds_read_b128 a[144:147], v12 offset:4352                   // 000000008F78: DBFE1100 9000000C
	ds_read_b128 a[148:151], v12 offset:4864                   // 000000008F80: DBFE1300 9400000C
	v_mfma_f32_16x16x16_bf16 v[72:75], v[96:97], a[100:101], v[72:75]// 000000008F88: D3E10048 1522C960
	v_fma_f32 v51, v51, s57, -v127                             // 000000008F90: D1CB0033 85FC7333
	v_fma_f32 v52, v52, s57, -v124                             // 000000008F98: D1CB0034 85F07334
	v_fma_f32 v53, v53, s57, -v125                             // 000000008FA0: D1CB0035 85F47335
	v_mfma_f32_16x16x16_bf16 v[72:75], v[98:99], a[102:103], v[72:75]// 000000008FA8: D3E10048 1522CD62
	v_fma_f32 v54, v54, s57, -v126                             // 000000008FB0: D1CB0036 85F87336
	v_fma_f32 v55, v55, s57, -v127                             // 000000008FB8: D1CB0037 85FC7337
	v_fma_f32 v56, v56, s57, -v124                             // 000000008FC0: D1CB0038 85F07338
	v_mfma_f32_16x16x16_bf16 v[72:75], v[100:101], a[104:105], v[72:75]// 000000008FC8: D3E10048 1522D164
	v_fma_f32 v57, v57, s57, -v125                             // 000000008FD0: D1CB0039 85F47339
	v_fma_f32 v58, v58, s57, -v126                             // 000000008FD8: D1CB003A 85F8733A
	v_fma_f32 v59, v59, s57, -v127                             // 000000008FE0: D1CB003B 85FC733B
	v_mfma_f32_16x16x16_bf16 v[72:75], v[102:103], a[106:107], v[72:75]// 000000008FE8: D3E10048 1522D566
	ds_read_b128 a[152:155], v12 offset:6528                   // 000000008FF0: DBFE1980 9800000C
	ds_read_b128 a[156:159], v12 offset:7040                   // 000000008FF8: DBFE1B80 9C00000C
	v_mfma_f32_16x16x16_bf16 v[72:75], v[104:105], a[108:109], v[72:75]// 000000009000: D3E10048 1522D968
	v_exp_f32_e32 v48, v48                                     // 000000009008: 7E604130
	v_mfma_f32_16x16x16_bf16 v[72:75], v[106:107], a[110:111], v[72:75]// 00000000900C: D3E10048 1522DD6A
	v_exp_f32_e32 v49, v49                                     // 000000009014: 7E624131
	v_mfma_f32_16x16x16_bf16 v[76:79], v[92:93], a[112:113], 0 // 000000009018: D3E1004C 1202E15C
	v_exp_f32_e32 v50, v50                                     // 000000009020: 7E644132
	v_mfma_f32_16x16x16_bf16 v[76:79], v[94:95], a[114:115], v[76:79]// 000000009024: D3E1004C 1532E55E
	ds_read_b64 v[136:137], v19 offset:24320                   // 00000000902C: D8EC5F00 88000013
	ds_read_b64 v[138:139], v19 offset:26368                   // 000000009034: D8EC6700 8A000013
	v_mfma_f32_16x16x16_bf16 v[76:79], v[96:97], a[116:117], v[76:79]// 00000000903C: D3E1004C 1532E960
	v_exp_f32_e32 v51, v51                                     // 000000009044: 7E664133
	v_mfma_f32_16x16x16_bf16 v[76:79], v[98:99], a[118:119], v[76:79]// 000000009048: D3E1004C 1532ED62
	ds_read_b64 v[140:141], v19 offset:28416                   // 000000009050: D8EC6F00 8C000013
	ds_read_b64 v[142:143], v19 offset:30464                   // 000000009058: D8EC7700 8E000013
	v_mfma_f32_16x16x16_bf16 v[76:79], v[100:101], a[120:121], v[76:79]// 000000009060: D3E1004C 1532F164
	v_exp_f32_e32 v52, v52                                     // 000000009068: 7E684134
	v_mfma_f32_16x16x16_bf16 v[76:79], v[102:103], a[122:123], v[76:79]// 00000000906C: D3E1004C 1532F566
	v_exp_f32_e32 v53, v53                                     // 000000009074: 7E6A4135
	v_mfma_f32_16x16x16_bf16 v[76:79], v[104:105], a[124:125], v[76:79]// 000000009078: D3E1004C 1532F968
	v_exp_f32_e32 v54, v54                                     // 000000009080: 7E6C4136
	v_mfma_f32_16x16x16_bf16 v[76:79], v[106:107], a[126:127], v[76:79]// 000000009084: D3E1004C 1532FD6A
	v_exp_f32_e32 v55, v55                                     // 00000000908C: 7E6E4137
	v_mfma_f32_16x16x16_bf16 v[80:83], v[92:93], a[128:129], 0 // 000000009090: D3E10050 1203015C
	v_exp_f32_e32 v56, v56                                     // 000000009098: 7E704138
	v_mfma_f32_16x16x16_bf16 v[80:83], v[94:95], a[130:131], v[80:83]// 00000000909C: D3E10050 1543055E
	v_exp_f32_e32 v57, v57                                     // 0000000090A4: 7E724139
	v_mfma_f32_16x16x16_bf16 v[80:83], v[96:97], a[132:133], v[80:83]// 0000000090A8: D3E10050 15430960
	v_exp_f32_e32 v58, v58                                     // 0000000090B0: 7E74413A
	v_mfma_f32_16x16x16_bf16 v[80:83], v[98:99], a[134:135], v[80:83]// 0000000090B4: D3E10050 15430D62
	v_exp_f32_e32 v59, v59                                     // 0000000090BC: 7E76413B
	v_mfma_f32_16x16x16_bf16 v[80:83], v[100:101], a[136:137], v[80:83]// 0000000090C0: D3E10050 15431164
	v_perm_b32 v144, v49, v48, s64                             // 0000000090C8: D1ED0090 01026131
	v_perm_b32 v145, v51, v50, s64                             // 0000000090D0: D1ED0091 01026533
	v_perm_b32 v146, v53, v52, s64                             // 0000000090D8: D1ED0092 01026935
	v_mfma_f32_16x16x16_bf16 v[80:83], v[102:103], a[138:139], v[80:83]// 0000000090E0: D3E10050 15431566
	v_perm_b32 v147, v55, v54, s64                             // 0000000090E8: D1ED0093 01026D37
	v_perm_b32 v148, v57, v56, s64                             // 0000000090F0: D1ED0094 01027139
	v_perm_b32 v149, v59, v58, s64                             // 0000000090F8: D1ED0095 0102753B
	v_mfma_f32_16x16x16_bf16 v[80:83], v[104:105], a[140:141], v[80:83]// 000000009100: D3E10050 15431968
	v_add_u32_e32 v7, s66, v7                                  // 000000009108: 680E0E42
	v_add_u32_e32 v8, s66, v8                                  // 00000000910C: 68101042
	v_mfma_f32_16x16x16_bf16 v[80:83], v[106:107], a[142:143], v[80:83]// 000000009110: D3E10050 15431D6A
	s_waitcnt lgkmcnt(0)                                       // 000000009118: BF8CC07F
	s_barrier                                                  // 00000000911C: BF8A0000
	v_mfma_f32_16x16x16_bf16 v[152:155], v[108:109], v[144:145], v[152:155]// 000000009120: D3E10098 0663216C
	v_subrev_f32_dpp v72, v150, v72 quad_perm:[0,0,0,0] row_mask:0xf bank_mask:0xf// 000000009128: 069090FA FF000096
	v_subrev_f32_dpp v73, v150, v73 quad_perm:[1,1,1,1] row_mask:0xf bank_mask:0xf// 000000009130: 069292FA FF005596
	v_subrev_f32_dpp v74, v150, v74 quad_perm:[2,2,2,2] row_mask:0xf bank_mask:0xf// 000000009138: 069494FA FF00AA96
	v_mfma_f32_16x16x16_bf16 v[156:159], v[110:111], v[144:145], v[156:159]// 000000009140: D3E1009C 0673216E
	v_subrev_f32_dpp v75, v150, v75 quad_perm:[3,3,3,3] row_mask:0xf bank_mask:0xf// 000000009148: 069696FA FF00FF96
	v_subrev_f32_dpp v76, v150, v76 quad_perm:[0,0,0,0] row_mask:0xf bank_mask:0xf// 000000009150: 069898FA FF000096
	v_subrev_f32_dpp v77, v150, v77 quad_perm:[1,1,1,1] row_mask:0xf bank_mask:0xf// 000000009158: 069A9AFA FF005596
	v_mfma_f32_16x16x16_bf16 v[160:163], v[112:113], v[144:145], v[160:163]// 000000009160: D3E100A0 06832170
	v_mul_f32_e32 v72, v48, v72                                // 000000009168: 0A909130
	v_mul_f32_e32 v73, v49, v73                                // 00000000916C: 0A929331
	v_mul_f32_e32 v74, v50, v74                                // 000000009170: 0A949532
	v_mfma_f32_16x16x16_bf16 v[164:167], v[114:115], v[144:145], v[164:167]// 000000009174: D3E100A4 06932172
	v_mul_f32_e32 v75, v51, v75                                // 00000000917C: 0A969733
	v_mul_f32_e32 v76, v52, v76                                // 000000009180: 0A989934
	v_mul_f32_e32 v77, v53, v77                                // 000000009184: 0A9A9B35
	v_mfma_f32_16x16x16_bf16 v[168:171], v[116:117], v[144:145], v[168:171]// 000000009188: D3E100A8 06A32174
	v_perm_b32 v72, v73, v72, s64                              // 000000009190: D1ED0048 01029149
	v_perm_b32 v73, v75, v74, s64                              // 000000009198: D1ED0049 0102954B
	v_perm_b32 v74, v77, v76, s64                              // 0000000091A0: D1ED004A 0102994D
	v_mfma_f32_16x16x16_bf16 v[172:175], v[118:119], v[144:145], v[172:175]// 0000000091A8: D3E100AC 06B32176
	v_mov_b32_dpp v16, v72 quad_perm:[1,0,3,2] row_mask:0xf bank_mask:0xf// 0000000091B0: 7E2002FA FF00B148
	v_perm_b32 v48, v16, v72, v15                              // 0000000091B8: D1ED0030 043E9110
	v_mov_b32_dpp v16, v73 quad_perm:[1,0,3,2] row_mask:0xf bank_mask:0xf// 0000000091C0: 7E2002FA FF00B149
	v_mfma_f32_16x16x16_bf16 v[176:179], v[120:121], v[144:145], v[176:179]// 0000000091C8: D3E100B0 06C32178
	ds_write_b32 v18, v48 offset:17408                         // 0000000091D0: D81A4400 00003012
	v_mfma_f32_16x16x16_bf16 v[180:183], v[122:123], v[144:145], v[180:183]// 0000000091D8: D3E100B4 06D3217A
	v_perm_b32 v49, v16, v73, v15                              // 0000000091E0: D1ED0031 043E9310
	v_mov_b32_dpp v16, v74 quad_perm:[1,0,3,2] row_mask:0xf bank_mask:0xf// 0000000091E8: 7E2002FA FF00B14A
	v_perm_b32 v50, v16, v74, v15                              // 0000000091F0: D1ED0032 043E9510
	v_mfma_f32_16x16x16_bf16 v[184:187], v[108:109], v[146:147], v[184:187]// 0000000091F8: D3E100B8 06E3256C
	ds_write_b32 v18, v49 offset:17952                         // 000000009200: D81A4620 00003112
	v_mfma_f32_16x16x16_bf16 v[188:191], v[110:111], v[146:147], v[188:191]// 000000009208: D3E100BC 06F3256E
	v_subrev_f32_dpp v78, v150, v78 quad_perm:[2,2,2,2] row_mask:0xf bank_mask:0xf// 000000009210: 069C9CFA FF00AA96
	v_subrev_f32_dpp v79, v150, v79 quad_perm:[3,3,3,3] row_mask:0xf bank_mask:0xf// 000000009218: 069E9EFA FF00FF96
	v_subrev_f32_dpp v80, v150, v80 quad_perm:[0,0,0,0] row_mask:0xf bank_mask:0xf// 000000009220: 06A0A0FA FF000096
	v_mfma_f32_16x16x16_bf16 v[192:195], v[112:113], v[146:147], v[192:195]// 000000009228: D3E100C0 07032570
	ds_write_b32 v18, v50 offset:19712                         // 000000009230: D81A4D00 00003212
	v_mfma_f32_16x16x16_bf16 v[196:199], v[114:115], v[146:147], v[196:199]// 000000009238: D3E100C4 07132572
	v_subrev_f32_dpp v81, v150, v81 quad_perm:[1,1,1,1] row_mask:0xf bank_mask:0xf// 000000009240: 06A2A2FA FF005596
	v_subrev_f32_dpp v82, v150, v82 quad_perm:[2,2,2,2] row_mask:0xf bank_mask:0xf// 000000009248: 06A4A4FA FF00AA96
	v_subrev_f32_dpp v83, v150, v83 quad_perm:[3,3,3,3] row_mask:0xf bank_mask:0xf// 000000009250: 06A6A6FA FF00FF96
	v_mfma_f32_16x16x16_bf16 v[200:203], v[116:117], v[146:147], v[200:203]// 000000009258: D3E100C8 07232574
	v_mul_f32_e32 v78, v54, v78                                // 000000009260: 0A9C9D36
	v_mul_f32_e32 v79, v55, v79                                // 000000009264: 0A9E9F37
	v_mul_f32_e32 v80, v56, v80                                // 000000009268: 0AA0A138
	v_mfma_f32_16x16x16_bf16 v[204:207], v[118:119], v[146:147], v[204:207]// 00000000926C: D3E100CC 07332576
	v_mul_f32_e32 v81, v57, v81                                // 000000009274: 0AA2A339
	v_mul_f32_e32 v82, v58, v82                                // 000000009278: 0AA4A53A
	v_mul_f32_e32 v83, v59, v83                                // 00000000927C: 0AA6A73B
	v_mfma_f32_16x16x16_bf16 v[208:211], v[120:121], v[146:147], v[208:211]// 000000009280: D3E100D0 07432578
	v_perm_b32 v75, v79, v78, s64                              // 000000009288: D1ED004B 01029D4F
	v_perm_b32 v76, v81, v80, s64                              // 000000009290: D1ED004C 0102A151
	v_perm_b32 v77, v83, v82, s64                              // 000000009298: D1ED004D 0102A553
	v_mfma_f32_16x16x16_bf16 v[212:215], v[122:123], v[146:147], v[212:215]// 0000000092A0: D3E100D4 0753257A
	v_mov_b32_dpp v16, v75 quad_perm:[1,0,3,2] row_mask:0xf bank_mask:0xf// 0000000092A8: 7E2002FA FF00B14B
	v_perm_b32 v51, v16, v75, v15                              // 0000000092B0: D1ED0033 043E9710
	v_mov_b32_dpp v16, v76 quad_perm:[1,0,3,2] row_mask:0xf bank_mask:0xf// 0000000092B8: 7E2002FA FF00B14C
	v_mfma_f32_16x16x16_bf16 v[216:219], v[108:109], v[148:149], v[216:219]// 0000000092C0: D3E100D8 0763296C
	ds_write_b32 v18, v51 offset:20256                         // 0000000092C8: D81A4F20 00003312
	v_mfma_f32_16x16x16_bf16 v[220:223], v[110:111], v[148:149], v[220:223]// 0000000092D0: D3E100DC 0773296E
	v_perm_b32 v52, v16, v76, v15                              // 0000000092D8: D1ED0034 043E9910
	v_mov_b32_dpp v16, v77 quad_perm:[1,0,3,2] row_mask:0xf bank_mask:0xf// 0000000092E0: 7E2002FA FF00B14D
	v_perm_b32 v53, v16, v77, v15                              // 0000000092E8: D1ED0035 043E9B10
	v_mfma_f32_16x16x16_bf16 v[224:227], v[112:113], v[148:149], v[224:227]// 0000000092F0: D3E100E0 07832970
	ds_write_b32 v18, v52 offset:22016                         // 0000000092F8: D81A5600 00003412
	ds_write_b32 v18, v53 offset:22560                         // 000000009300: D81A5820 00003512
	v_mfma_f32_16x16x16_bf16 v[228:231], v[114:115], v[148:149], v[228:231]// 000000009308: D3E100E4 07932972
	v_mfma_f32_16x16x16_bf16 v[232:235], v[116:117], v[148:149], v[232:235]// 000000009310: D3E100E8 07A32974
	ds_write_b32 v13, v84 offset:4352                          // 000000009318: D81A1100 0000540D
	ds_write_b32 v13, v85 offset:5408                          // 000000009320: D81A1520 0000550D
	v_mfma_f32_16x16x16_bf16 v[236:239], v[118:119], v[148:149], v[236:239]// 000000009328: D3E100EC 07B32976
	v_mfma_f32_16x16x16_bf16 v[240:243], v[120:121], v[148:149], v[240:243]// 000000009330: D3E100F0 07C32978
	ds_write_b32 v13, v86 offset:4480                          // 000000009338: D81A1180 0000560D
	ds_write_b32 v13, v87 offset:5536                          // 000000009340: D81A15A0 0000570D
	v_mfma_f32_16x16x16_bf16 v[244:247], v[122:123], v[148:149], v[244:247]// 000000009348: D3E100F4 07D3297A
	s_nop 0                                                    // 000000009350: BF800000
	s_nop 0                                                    // 000000009354: BF800000
	;; [unrolled: 1-line block ×3, first 2 shown]
	s_barrier                                                  // 00000000935C: BF8A0000
	v_mfma_f32_16x16x16_bf16 a[160:163], a[144:145], v[72:73], a[160:163]// 000000009360: D3E180A0 0E829190
	ds_read_b32 v124, v21 offset:50688                         // 000000009368: D86CC600 7C000015
	ds_read_b32 v150, v21 offset:50944                         // 000000009370: D86CC700 96000015
	v_mfma_f32_16x16x16_bf16 a[164:167], a[146:147], v[72:73], a[164:167]// 000000009378: D3E180A4 0E929192
	buffer_atomic_add_f32 v136, v7, s[32:35], 0 offen          // 000000009380: E1341000 80088807
	v_mfma_f32_16x16x16_bf16 a[168:171], a[148:149], v[72:73], a[168:171]// 000000009388: D3E180A8 0EA29194
	s_waitcnt lgkmcnt(6)                                       // 000000009390: BF8CC67F
	s_barrier                                                  // 000000009394: BF8A0000
	v_mfma_f32_16x16x16_bf16 a[172:175], a[150:151], v[72:73], a[172:175]// 000000009398: D3E180AC 0EB29196
	v_mfma_f32_16x16x16_bf16 a[176:179], a[152:153], v[72:73], a[176:179]// 0000000093A0: D3E180B0 0EC29198
	ds_read_b128 v[48:51], v17 offset:17408                    // 0000000093A8: D9FE4400 30000011
	v_mfma_f32_16x16x16_bf16 a[180:183], a[154:155], v[72:73], a[180:183]// 0000000093B0: D3E180B4 0ED2919A
	v_mfma_f32_16x16x16_bf16 a[184:187], a[156:157], v[72:73], a[184:187]// 0000000093B8: D3E180B8 0EE2919C
	ds_read_b128 v[52:55], v17 offset:18560                    // 0000000093C0: D9FE4880 34000011
	v_mfma_f32_16x16x16_bf16 a[188:191], a[158:159], v[72:73], a[188:191]// 0000000093C8: D3E180BC 0EF2919E
	buffer_atomic_add_f32 v137, v8, s[32:35], 0 offen          // 0000000093D0: E1341000 80088908
	v_mfma_f32_16x16x16_bf16 a[192:195], a[144:145], v[74:75], a[192:195]// 0000000093D8: D3E180C0 0F029590
	ds_read_b128 v[56:59], v17 offset:19712                    // 0000000093E0: D9FE4D00 38000011
	v_mfma_f32_16x16x16_bf16 a[196:199], a[146:147], v[74:75], a[196:199]// 0000000093E8: D3E180C4 0F129592
	v_mfma_f32_16x16x16_bf16 a[200:203], a[148:149], v[74:75], a[200:203]// 0000000093F0: D3E180C8 0F229594
	ds_read_b128 v[60:63], v17 offset:20864                    // 0000000093F8: D9FE5180 3C000011
	v_mfma_f32_16x16x16_bf16 a[204:207], a[150:151], v[74:75], a[204:207]// 000000009400: D3E180CC 0F329596
	v_mfma_f32_16x16x16_bf16 a[208:211], a[152:153], v[74:75], a[208:211]// 000000009408: D3E180D0 0F429598
	ds_read_b128 v[64:67], v17 offset:22016                    // 000000009410: D9FE5600 40000011
	v_mfma_f32_16x16x16_bf16 a[212:215], a[154:155], v[74:75], a[212:215]// 000000009418: D3E180D4 0F52959A
	buffer_atomic_add_f32 v138, v7, s[32:35], 0 offen offset:128// 000000009420: E1341080 80088A07
	v_mfma_f32_16x16x16_bf16 a[216:219], a[156:157], v[74:75], a[216:219]// 000000009428: D3E180D8 0F62959C
	ds_read_b128 v[68:71], v17 offset:23168                    // 000000009430: D9FE5A80 44000011
	v_mfma_f32_16x16x16_bf16 a[220:223], a[158:159], v[74:75], a[220:223]// 000000009438: D3E180DC 0F72959E
	v_mfma_f32_16x16x16_bf16 a[224:227], a[144:145], v[76:77], a[224:227]// 000000009440: D3E180E0 0F829990
	ds_write_b32 v13, v88 offset:13056                         // 000000009448: D81A3300 0000580D
	v_mfma_f32_16x16x16_bf16 a[228:231], a[146:147], v[76:77], a[228:231]// 000000009450: D3E180E4 0F929992
	v_mfma_f32_16x16x16_bf16 a[232:235], a[148:149], v[76:77], a[232:235]// 000000009458: D3E180E8 0FA29994
	ds_write_b32 v13, v89 offset:14112                         // 000000009460: D81A3720 0000590D
	v_mfma_f32_16x16x16_bf16 a[236:239], a[150:151], v[76:77], a[236:239]// 000000009468: D3E180EC 0FB29996
	buffer_atomic_add_f32 v139, v8, s[32:35], 0 offen offset:128// 000000009470: E1341080 80088B08
	v_mfma_f32_16x16x16_bf16 a[240:243], a[152:153], v[76:77], a[240:243]// 000000009478: D3E180F0 0FC29998
	ds_write_b32 v13, v90 offset:13184                         // 000000009480: D81A3380 00005A0D
	v_mfma_f32_16x16x16_bf16 a[244:247], a[154:155], v[76:77], a[244:247]// 000000009488: D3E180F4 0FD2999A
	v_mfma_f32_16x16x16_bf16 a[248:251], a[156:157], v[76:77], a[248:251]// 000000009490: D3E180F8 0FE2999C
	ds_write_b32 v13, v91 offset:14240                         // 000000009498: D81A37A0 00005B0D
	v_mfma_f32_16x16x16_bf16 a[252:255], a[158:159], v[76:77], a[252:255]// 0000000094A0: D3E180FC 0FF2999E
	s_waitcnt vmcnt(8) lgkmcnt(4)                              // 0000000094A8: BF8C0478
	s_barrier                                                  // 0000000094AC: BF8A0000
	v_mfma_f32_16x16x16_bf16 v[128:131], v[48:49], a[48:49], 0 // 0000000094B0: D3E10080 12026130
	ds_read_b128 a[144:147], v10                               // 0000000094B8: DBFE0000 9000000A
	v_mov_b32_e32 v32, 0                                       // 0000000094C0: 7E400280
	s_mov_b64 exec, s[82:83]                                   // 0000000094C4: BEFE0152
	buffer_load_dword v32, v1, s[8:11], 0 idxen                // 0000000094C8: E0502000 80022001
	s_mov_b32 exec_lo, -1                                      // 0000000094D0: BEFE00C1
	s_mov_b32 exec_hi, -1                                      // 0000000094D4: BEFF00C1
	v_mfma_f32_16x16x16_bf16 v[128:131], v[50:51], a[52:53], v[128:131]// 0000000094D8: D3E10080 16026932
	v_mul_f32_e32 v124, s48, v124                              // 0000000094E0: 0AF8F830
	s_nop 0                                                    // 0000000094E4: BF800000
	v_mfma_f32_16x16x16_bf16 v[128:131], v[52:53], a[56:57], v[128:131]// 0000000094E8: D3E10080 16027134
	ds_read_b128 a[148:151], v10 offset:512                    // 0000000094F0: DBFE0200 9400000A
	v_mov_b32_e32 v33, 0                                       // 0000000094F8: 7E420280
	s_mov_b64 exec, s[82:83]                                   // 0000000094FC: BEFE0152
	buffer_load_dword v33, v2, s[8:11], 0 idxen                // 000000009500: E0502000 80022102
	s_mov_b32 exec_lo, -1                                      // 000000009508: BEFE00C1
	s_mov_b32 exec_hi, -1                                      // 00000000950C: BEFF00C1
	v_mfma_f32_16x16x16_bf16 v[128:131], v[54:55], a[60:61], v[128:131]// 000000009510: D3E10080 16027936
	v_mfma_f32_16x16x16_bf16 v[128:131], v[56:57], a[64:65], v[128:131]// 000000009518: D3E10080 16028138
	ds_read_b128 a[152:155], v10 offset:2176                   // 000000009520: DBFE0880 9800000A
	v_mov_b32_e32 v34, 0                                       // 000000009528: 7E440280
	s_mov_b64 exec, s[82:83]                                   // 00000000952C: BEFE0152
	buffer_load_dword v34, v3, s[8:11], 0 idxen                // 000000009530: E0502000 80022203
	s_mov_b32 exec_lo, -1                                      // 000000009538: BEFE00C1
	s_mov_b32 exec_hi, -1                                      // 00000000953C: BEFF00C1
	v_mfma_f32_16x16x16_bf16 v[128:131], v[58:59], a[68:69], v[128:131]// 000000009540: D3E10080 1602893A
	v_perm_b32 v84, v37, v36, s63                              // 000000009548: D1ED0054 00FE4925
	v_perm_b32 v85, v37, v36, s64                              // 000000009550: D1ED0055 01024925
	v_mfma_f32_16x16x16_bf16 v[128:131], v[60:61], a[72:73], v[128:131]// 000000009558: D3E10080 1602913C
	ds_read_b128 a[156:159], v10 offset:2688                   // 000000009560: DBFE0A80 9C00000A
	v_mov_b32_e32 v35, 0                                       // 000000009568: 7E460280
	s_mov_b64 exec, s[82:83]                                   // 00000000956C: BEFE0152
	buffer_load_dword v35, v4, s[8:11], 0 idxen                // 000000009570: E0502000 80022304
	s_mov_b32 exec_lo, -1                                      // 000000009578: BEFE00C1
	s_mov_b32 exec_hi, -1                                      // 00000000957C: BEFF00C1
	v_mfma_f32_16x16x16_bf16 v[128:131], v[62:63], a[76:77], v[128:131]// 000000009580: D3E10080 1602993E
	v_perm_b32 v86, v39, v38, s63                              // 000000009588: D1ED0056 00FE4D27
	v_perm_b32 v87, v39, v38, s64                              // 000000009590: D1ED0057 01024D27
	v_mfma_f32_16x16x16_bf16 v[128:131], v[64:65], a[80:81], v[128:131]// 000000009598: D3E10080 1602A140
	ds_read_b128 v[92:95], v10 offset:8704                     // 0000000095A0: D9FE2200 5C00000A
	v_mov_b32_e32 v40, 0                                       // 0000000095A8: 7E500280
	s_mov_b64 exec, s[82:83]                                   // 0000000095AC: BEFE0152
	buffer_load_dword v40, v252, s[20:23], 0 idxen             // 0000000095B0: E0502000 800528FC
	s_mov_b32 exec_lo, -1                                      // 0000000095B8: BEFE00C1
	s_mov_b32 exec_hi, -1                                      // 0000000095BC: BEFF00C1
	v_mfma_f32_16x16x16_bf16 v[128:131], v[66:67], a[84:85], v[128:131]// 0000000095C0: D3E10080 1602A942
	v_perm_b32 v88, v45, v44, s63                              // 0000000095C8: D1ED0058 00FE592D
	v_perm_b32 v89, v45, v44, s64                              // 0000000095D0: D1ED0059 0102592D
	v_mfma_f32_16x16x16_bf16 v[128:131], v[68:69], a[88:89], v[128:131]// 0000000095D8: D3E10080 1602B144
	ds_read_b128 v[96:99], v10 offset:9216                     // 0000000095E0: D9FE2400 6000000A
	v_mov_b32_e32 v41, 0                                       // 0000000095E8: 7E520280
	s_mov_b64 exec, s[82:83]                                   // 0000000095EC: BEFE0152
	buffer_load_dword v41, v253, s[20:23], 0 idxen             // 0000000095F0: E0502000 800529FD
	s_mov_b32 exec_lo, -1                                      // 0000000095F8: BEFE00C1
	s_mov_b32 exec_hi, -1                                      // 0000000095FC: BEFF00C1
	v_mfma_f32_16x16x16_bf16 v[128:131], v[70:71], a[92:93], v[128:131]// 000000009600: D3E10080 1602B946
	v_perm_b32 v90, v47, v46, s63                              // 000000009608: D1ED005A 00FE5D2F
	v_perm_b32 v91, v47, v46, s64                              // 000000009610: D1ED005B 01025D2F
	v_mfma_f32_16x16x16_bf16 v[132:135], v[48:49], a[50:51], 0 // 000000009618: D3E10084 12026530
	ds_read_b128 v[100:103], v10 offset:10880                  // 000000009620: D9FE2A80 6400000A
	v_mov_b32_e32 v42, 0                                       // 000000009628: 7E540280
	s_mov_b64 exec, s[82:83]                                   // 00000000962C: BEFE0152
	buffer_load_dword v42, v254, s[20:23], 0 idxen             // 000000009630: E0502000 80052AFE
	s_mov_b32 exec_lo, -1                                      // 000000009638: BEFE00C1
	s_mov_b32 exec_hi, -1                                      // 00000000963C: BEFF00C1
	v_mfma_f32_16x16x16_bf16 v[132:135], v[50:51], a[54:55], v[132:135]// 000000009640: D3E10084 16126D32
	v_mov_b32_dpp v127, v124 quad_perm:[3,3,3,3] row_mask:0xf bank_mask:0xf// 000000009648: 7EFE02FA FF00FF7C
	v_mov_b32_dpp v126, v124 quad_perm:[2,2,2,2] row_mask:0xf bank_mask:0xf// 000000009650: 7EFC02FA FF00AA7C
	v_mfma_f32_16x16x16_bf16 v[132:135], v[52:53], a[58:59], v[132:135]// 000000009658: D3E10084 16127534
	ds_read_b128 v[104:107], v10 offset:11392                  // 000000009660: D9FE2C80 6800000A
	v_mov_b32_e32 v43, 0                                       // 000000009668: 7E560280
	s_mov_b64 exec, s[82:83]                                   // 00000000966C: BEFE0152
	buffer_load_dword v43, v255, s[20:23], 0 idxen             // 000000009670: E0502000 80052BFF
	s_mov_b32 exec_lo, -1                                      // 000000009678: BEFE00C1
	s_mov_b32 exec_hi, -1                                      // 00000000967C: BEFF00C1
	v_mfma_f32_16x16x16_bf16 v[132:135], v[54:55], a[62:63], v[132:135]// 000000009680: D3E10084 16127D36
	v_mov_b32_dpp v125, v124 quad_perm:[1,1,1,1] row_mask:0xf bank_mask:0xf// 000000009688: 7EFA02FA FF00557C
	v_mov_b32_dpp v124, v124 quad_perm:[0,0,0,0] row_mask:0xf bank_mask:0xf// 000000009690: 7EF802FA FF00007C
	s_add_u32 s60, 64, s59                                     // 000000009698: 803C3BC0
	v_mfma_f32_16x16x16_bf16 v[132:135], v[56:57], a[66:67], v[132:135]// 00000000969C: D3E10084 16128538
	buffer_load_dword v9, s[24:27], 0 idxen lds                // 0000000096A4: E0512000 80060009
	v_mfma_f32_16x16x16_bf16 v[132:135], v[58:59], a[70:71], v[132:135]// 0000000096AC: D3E10084 16128D3A
	s_cmp_lt_u32 s60, s58                                      // 0000000096B4: BF0A3A3C
	s_cselect_b32 s68, s68, 0                                  // 0000000096B8: 85448044
	s_cselect_b32 s100, s100, 0                                // 0000000096BC: 85648064
	s_cselect_b32 s69, s69, 0                                  // 0000000096C0: 85458045
	v_mfma_f32_16x16x16_bf16 v[132:135], v[60:61], a[74:75], v[132:135]// 0000000096C4: D3E10084 1612953C
	v_add_u32_e32 v1, s68, v1                                  // 0000000096CC: 68020244
	v_add_u32_e32 v2, s68, v2                                  // 0000000096D0: 68040444
	v_add_u32_e32 v3, s68, v3                                  // 0000000096D4: 68060644
	v_add_u32_e32 v4, s68, v4                                  // 0000000096D8: 68080844
	v_mfma_f32_16x16x16_bf16 v[132:135], v[62:63], a[78:79], v[132:135]// 0000000096DC: D3E10084 16129D3E
	v_add_u32_e32 v252, s100, v252                             // 0000000096E4: 69F9F864
	v_add_u32_e32 v253, s100, v253                             // 0000000096E8: 69FBFA64
	v_add_u32_e32 v254, s100, v254                             // 0000000096EC: 69FDFC64
	v_add_u32_e32 v255, s100, v255                             // 0000000096F0: 69FFFE64
	v_mfma_f32_16x16x16_bf16 v[132:135], v[64:65], a[82:83], v[132:135]// 0000000096F4: D3E10084 1612A540
	s_mov_b32 m0, s81                                          // 0000000096FC: BEFC0051
	v_add_u32_e32 v9, s69, v9                                  // 000000009700: 68121245
	v_mfma_f32_16x16x16_bf16 v[132:135], v[66:67], a[86:87], v[132:135]// 000000009704: D3E10084 1612AD42
	s_cmp_ge_u32 s59, s73                                      // 00000000970C: BF09493B
	s_cselect_b32 s66, s67, s66                                // 000000009710: 85424243
	v_mfma_f32_16x16x16_bf16 v[132:135], v[68:69], a[90:91], v[132:135]// 000000009714: D3E10084 1612B544
	s_addk_i32 s59, 0x10                                       // 00000000971C: B73B0010
	s_nop 0                                                    // 000000009720: BF800000
	s_cmp_lt_i32 s59, s58                                      // 000000009724: BF043A3B
	v_mfma_f32_16x16x16_bf16 v[132:135], v[70:71], a[94:95], v[132:135]// 000000009728: D3E10084 1612BD46
	s_cbranch_scc0 label_1076                                  // 000000009730: BF84FA1F
	s_branch label_1079                                        // 000000009734: BF82FA21

0000000000009738 <label_1662>:
	buffer_atomic_add_f32 v140, v7, s[32:35], 0 offen offset:256// 000000009738: E1341100 80088C07
	buffer_atomic_add_f32 v141, v8, s[32:35], 0 offen offset:256// 000000009740: E1341100 80088D08
	buffer_atomic_add_f32 v142, v7, s[32:35], 0 offen offset:384// 000000009748: E1341180 80088E07
	buffer_atomic_add_f32 v143, v8, s[32:35], 0 offen offset:384// 000000009750: E1341180 80088F08
	v_add_u32_e32 v7, s66, v7                                  // 000000009758: 680E0E42
	v_add_u32_e32 v8, s66, v8                                  // 00000000975C: 68101042
	v_lshrrev_b32_e32 v28, 5, v0                               // 000000009760: 20380085
	v_mul_i32_i24_e32 v25, 0x42, v28                           // 000000009764: 0C3238FF 00000042
	v_and_b32_e32 v28, 31, v0                                  // 00000000976C: 2638009F
	v_mul_i32_i24_e32 v29, 2, v28                              // 000000009770: 0C3A3882
	v_add_u32_e32 v25, v29, v25                                // 000000009774: 6832331D
	s_mul_i32 s60, s46, 0x420                                  // 000000009778: 923CFF2E 00000420
	v_add_u32_e32 v25, s60, v25                                // 000000009780: 6832323C
	v_lshlrev_b32_e32 v25, 2, v25                              // 000000009784: 24323282
	v_mul_f32_e32 v128, s47, v128                              // 000000009788: 0B01002F
	v_mul_f32_e32 v129, s47, v129                              // 00000000978C: 0B03022F
	v_mul_f32_e32 v130, s47, v130                              // 000000009790: 0B05042F
	v_mul_f32_e32 v131, s47, v131                              // 000000009794: 0B07062F
	v_mul_f32_e32 v132, s47, v132                              // 000000009798: 0B09082F
	v_mul_f32_e32 v133, s47, v133                              // 00000000979C: 0B0B0A2F
	v_mul_f32_e32 v134, s47, v134                              // 0000000097A0: 0B0D0C2F
	v_mul_f32_e32 v135, s47, v135                              // 0000000097A4: 0B0F0E2F
	ds_write_b64 v20, v[128:129] offset:24320                  // 0000000097A8: D89A5F00 00008014
	ds_write_b64 v20, v[130:131] offset:24832                  // 0000000097B0: D89A6100 00008214
	ds_write_b64 v20, v[132:133] offset:25344                  // 0000000097B8: D89A6300 00008414
	ds_write_b64 v20, v[134:135] offset:25856                  // 0000000097C0: D89A6500 00008614
	s_waitcnt lgkmcnt(0)                                       // 0000000097C8: BF8CC07F
	s_barrier                                                  // 0000000097CC: BF8A0000
	ds_read_b64 v[136:137], v19 offset:24320                   // 0000000097D0: D8EC5F00 88000013
	ds_read_b64 v[138:139], v19 offset:26368                   // 0000000097D8: D8EC6700 8A000013
	ds_read_b64 v[140:141], v19 offset:28416                   // 0000000097E0: D8EC6F00 8C000013
	ds_read_b64 v[142:143], v19 offset:30464                   // 0000000097E8: D8EC7700 8E000013
	s_waitcnt lgkmcnt(0)                                       // 0000000097F0: BF8CC07F
	s_barrier                                                  // 0000000097F4: BF8A0000
	buffer_atomic_add_f32 v136, v7, s[32:35], 0 offen          // 0000000097F8: E1341000 80088807
	buffer_atomic_add_f32 v137, v8, s[32:35], 0 offen          // 000000009800: E1341000 80088908
	buffer_atomic_add_f32 v138, v7, s[32:35], 0 offen offset:128// 000000009808: E1341080 80088A07
	buffer_atomic_add_f32 v139, v8, s[32:35], 0 offen offset:128// 000000009810: E1341080 80088B08
	buffer_atomic_add_f32 v140, v7, s[32:35], 0 offen offset:256// 000000009818: E1341100 80088C07
	buffer_atomic_add_f32 v141, v8, s[32:35], 0 offen offset:256// 000000009820: E1341100 80088D08
	buffer_atomic_add_f32 v142, v7, s[32:35], 0 offen offset:384// 000000009828: E1341180 80088E07
	buffer_atomic_add_f32 v143, v8, s[32:35], 0 offen offset:384// 000000009830: E1341180 80088F08
	v_lshrrev_b32_e32 v28, 4, v0                               // 000000009838: 20380084
	v_mul_i32_i24_e32 v24, 2, v28                              // 00000000983C: 0C303882
	v_and_b32_e32 v28, 15, v0                                  // 000000009840: 2638008F
	v_mul_i32_i24_e32 v29, 0x42, v28                           // 000000009844: 0C3A38FF 00000042
	v_add_u32_e32 v24, v29, v24                                // 00000000984C: 6830311D
	s_mul_i32 s60, s46, 0x420                                  // 000000009850: 923CFF2E 00000420
	v_add_u32_e32 v24, s60, v24                                // 000000009858: 6830303C
	v_lshlrev_b32_e32 v24, 2, v24                              // 00000000985C: 24303082
	v_and_b32_e32 v28, 15, v0                                  // 000000009860: 2638008F
	v_mov_b32_e32 v29, s50                                     // 000000009864: 7E3A0232
	v_lshrrev_b32_e32 v29, 3, v29                              // 000000009868: 203A3A83
	v_cmp_lt_u32_e64 s[82:83], v28, v29                        // 00000000986C: D0C90052 00023B1C
	v_accvgpr_read_b32 v30, a160                               // 000000009874: D3D8401E 180001A0
	v_accvgpr_read_b32 v31, a161                               // 00000000987C: D3D8401F 180001A1
	v_mul_f32_e32 v30, s47, v30                                // 000000009884: 0A3C3C2F
	v_mul_f32_e32 v31, s47, v31                                // 000000009888: 0A3E3E2F
	v_cmp_u_f32_e64 s[78:79], v30, v30                         // 00000000988C: D048004E 00023D1E
	v_bfe_u32 v248, v30, 16, 1                                 // 000000009894: D1C800F8 0205211E
	v_add3_u32 v248, v30, v248, v251                           // 00000000989C: D1FF00F8 07EFF11E
	v_cndmask_b32_e64 v28, v248, v250, s[78:79]                // 0000000098A4: D100001C 013BF5F8
	v_lshrrev_b32_e32 v28, 16, v28                             // 0000000098AC: 20383890
	v_cmp_u_f32_e64 s[78:79], v31, v31                         // 0000000098B0: D048004E 00023F1F
	v_bfe_u32 v248, v31, 16, 1                                 // 0000000098B8: D1C800F8 0205211F
	v_add3_u32 v248, v31, v248, v251                           // 0000000098C0: D1FF00F8 07EFF11F
	v_cndmask_b32_e64 v29, v248, v250, s[78:79]                // 0000000098C8: D100001D 013BF5F8
	v_and_or_b32 v48, v29, v249, v28                           // 0000000098D0: D2010030 0473F31D
	v_accvgpr_read_b32 v30, a162                               // 0000000098D8: D3D8401E 180001A2
	v_accvgpr_read_b32 v31, a163                               // 0000000098E0: D3D8401F 180001A3
	v_mul_f32_e32 v30, s47, v30                                // 0000000098E8: 0A3C3C2F
	v_mul_f32_e32 v31, s47, v31                                // 0000000098EC: 0A3E3E2F
	v_cmp_u_f32_e64 s[78:79], v30, v30                         // 0000000098F0: D048004E 00023D1E
	v_bfe_u32 v248, v30, 16, 1                                 // 0000000098F8: D1C800F8 0205211E
	v_add3_u32 v248, v30, v248, v251                           // 000000009900: D1FF00F8 07EFF11E
	v_cndmask_b32_e64 v28, v248, v250, s[78:79]                // 000000009908: D100001C 013BF5F8
	v_lshrrev_b32_e32 v28, 16, v28                             // 000000009910: 20383890
	v_cmp_u_f32_e64 s[78:79], v31, v31                         // 000000009914: D048004E 00023F1F
	v_bfe_u32 v248, v31, 16, 1                                 // 00000000991C: D1C800F8 0205211F
	v_add3_u32 v248, v31, v248, v251                           // 000000009924: D1FF00F8 07EFF11F
	v_cndmask_b32_e64 v29, v248, v250, s[78:79]                // 00000000992C: D100001D 013BF5F8
	v_and_or_b32 v49, v29, v249, v28                           // 000000009934: D2010031 0473F31D
	v_accvgpr_read_b32 v30, a164                               // 00000000993C: D3D8401E 180001A4
	v_accvgpr_read_b32 v31, a165                               // 000000009944: D3D8401F 180001A5
	v_mul_f32_e32 v30, s47, v30                                // 00000000994C: 0A3C3C2F
	v_mul_f32_e32 v31, s47, v31                                // 000000009950: 0A3E3E2F
	v_cmp_u_f32_e64 s[78:79], v30, v30                         // 000000009954: D048004E 00023D1E
	v_bfe_u32 v248, v30, 16, 1                                 // 00000000995C: D1C800F8 0205211E
	v_add3_u32 v248, v30, v248, v251                           // 000000009964: D1FF00F8 07EFF11E
	v_cndmask_b32_e64 v28, v248, v250, s[78:79]                // 00000000996C: D100001C 013BF5F8
	v_lshrrev_b32_e32 v28, 16, v28                             // 000000009974: 20383890
	v_cmp_u_f32_e64 s[78:79], v31, v31                         // 000000009978: D048004E 00023F1F
	v_bfe_u32 v248, v31, 16, 1                                 // 000000009980: D1C800F8 0205211F
	v_add3_u32 v248, v31, v248, v251                           // 000000009988: D1FF00F8 07EFF11F
	v_cndmask_b32_e64 v29, v248, v250, s[78:79]                // 000000009990: D100001D 013BF5F8
	v_and_or_b32 v50, v29, v249, v28                           // 000000009998: D2010032 0473F31D
	v_accvgpr_read_b32 v30, a166                               // 0000000099A0: D3D8401E 180001A6
	v_accvgpr_read_b32 v31, a167                               // 0000000099A8: D3D8401F 180001A7
	v_mul_f32_e32 v30, s47, v30                                // 0000000099B0: 0A3C3C2F
	v_mul_f32_e32 v31, s47, v31                                // 0000000099B4: 0A3E3E2F
	v_cmp_u_f32_e64 s[78:79], v30, v30                         // 0000000099B8: D048004E 00023D1E
	v_bfe_u32 v248, v30, 16, 1                                 // 0000000099C0: D1C800F8 0205211E
	v_add3_u32 v248, v30, v248, v251                           // 0000000099C8: D1FF00F8 07EFF11E
	v_cndmask_b32_e64 v28, v248, v250, s[78:79]                // 0000000099D0: D100001C 013BF5F8
	v_lshrrev_b32_e32 v28, 16, v28                             // 0000000099D8: 20383890
	v_cmp_u_f32_e64 s[78:79], v31, v31                         // 0000000099DC: D048004E 00023F1F
	v_bfe_u32 v248, v31, 16, 1                                 // 0000000099E4: D1C800F8 0205211F
	v_add3_u32 v248, v31, v248, v251                           // 0000000099EC: D1FF00F8 07EFF11F
	v_cndmask_b32_e64 v29, v248, v250, s[78:79]                // 0000000099F4: D100001D 013BF5F8
	v_and_or_b32 v51, v29, v249, v28                           // 0000000099FC: D2010033 0473F31D
	v_accvgpr_read_b32 v30, a168                               // 000000009A04: D3D8401E 180001A8
	v_accvgpr_read_b32 v31, a169                               // 000000009A0C: D3D8401F 180001A9
	v_mul_f32_e32 v30, s47, v30                                // 000000009A14: 0A3C3C2F
	v_mul_f32_e32 v31, s47, v31                                // 000000009A18: 0A3E3E2F
	v_cmp_u_f32_e64 s[78:79], v30, v30                         // 000000009A1C: D048004E 00023D1E
	v_bfe_u32 v248, v30, 16, 1                                 // 000000009A24: D1C800F8 0205211E
	v_add3_u32 v248, v30, v248, v251                           // 000000009A2C: D1FF00F8 07EFF11E
	v_cndmask_b32_e64 v28, v248, v250, s[78:79]                // 000000009A34: D100001C 013BF5F8
	v_lshrrev_b32_e32 v28, 16, v28                             // 000000009A3C: 20383890
	v_cmp_u_f32_e64 s[78:79], v31, v31                         // 000000009A40: D048004E 00023F1F
	v_bfe_u32 v248, v31, 16, 1                                 // 000000009A48: D1C800F8 0205211F
	v_add3_u32 v248, v31, v248, v251                           // 000000009A50: D1FF00F8 07EFF11F
	v_cndmask_b32_e64 v29, v248, v250, s[78:79]                // 000000009A58: D100001D 013BF5F8
	v_and_or_b32 v52, v29, v249, v28                           // 000000009A60: D2010034 0473F31D
	v_accvgpr_read_b32 v30, a170                               // 000000009A68: D3D8401E 180001AA
	v_accvgpr_read_b32 v31, a171                               // 000000009A70: D3D8401F 180001AB
	v_mul_f32_e32 v30, s47, v30                                // 000000009A78: 0A3C3C2F
	v_mul_f32_e32 v31, s47, v31                                // 000000009A7C: 0A3E3E2F
	v_cmp_u_f32_e64 s[78:79], v30, v30                         // 000000009A80: D048004E 00023D1E
	v_bfe_u32 v248, v30, 16, 1                                 // 000000009A88: D1C800F8 0205211E
	v_add3_u32 v248, v30, v248, v251                           // 000000009A90: D1FF00F8 07EFF11E
	v_cndmask_b32_e64 v28, v248, v250, s[78:79]                // 000000009A98: D100001C 013BF5F8
	v_lshrrev_b32_e32 v28, 16, v28                             // 000000009AA0: 20383890
	v_cmp_u_f32_e64 s[78:79], v31, v31                         // 000000009AA4: D048004E 00023F1F
	v_bfe_u32 v248, v31, 16, 1                                 // 000000009AAC: D1C800F8 0205211F
	v_add3_u32 v248, v31, v248, v251                           // 000000009AB4: D1FF00F8 07EFF11F
	v_cndmask_b32_e64 v29, v248, v250, s[78:79]                // 000000009ABC: D100001D 013BF5F8
	v_and_or_b32 v53, v29, v249, v28                           // 000000009AC4: D2010035 0473F31D
	v_accvgpr_read_b32 v30, a172                               // 000000009ACC: D3D8401E 180001AC
	v_accvgpr_read_b32 v31, a173                               // 000000009AD4: D3D8401F 180001AD
	v_mul_f32_e32 v30, s47, v30                                // 000000009ADC: 0A3C3C2F
	v_mul_f32_e32 v31, s47, v31                                // 000000009AE0: 0A3E3E2F
	v_cmp_u_f32_e64 s[78:79], v30, v30                         // 000000009AE4: D048004E 00023D1E
	v_bfe_u32 v248, v30, 16, 1                                 // 000000009AEC: D1C800F8 0205211E
	v_add3_u32 v248, v30, v248, v251                           // 000000009AF4: D1FF00F8 07EFF11E
	v_cndmask_b32_e64 v28, v248, v250, s[78:79]                // 000000009AFC: D100001C 013BF5F8
	v_lshrrev_b32_e32 v28, 16, v28                             // 000000009B04: 20383890
	v_cmp_u_f32_e64 s[78:79], v31, v31                         // 000000009B08: D048004E 00023F1F
	v_bfe_u32 v248, v31, 16, 1                                 // 000000009B10: D1C800F8 0205211F
	v_add3_u32 v248, v31, v248, v251                           // 000000009B18: D1FF00F8 07EFF11F
	v_cndmask_b32_e64 v29, v248, v250, s[78:79]                // 000000009B20: D100001D 013BF5F8
	v_and_or_b32 v54, v29, v249, v28                           // 000000009B28: D2010036 0473F31D
	v_accvgpr_read_b32 v30, a174                               // 000000009B30: D3D8401E 180001AE
	v_accvgpr_read_b32 v31, a175                               // 000000009B38: D3D8401F 180001AF
	v_mul_f32_e32 v30, s47, v30                                // 000000009B40: 0A3C3C2F
	v_mul_f32_e32 v31, s47, v31                                // 000000009B44: 0A3E3E2F
	v_cmp_u_f32_e64 s[78:79], v30, v30                         // 000000009B48: D048004E 00023D1E
	v_bfe_u32 v248, v30, 16, 1                                 // 000000009B50: D1C800F8 0205211E
	v_add3_u32 v248, v30, v248, v251                           // 000000009B58: D1FF00F8 07EFF11E
	v_cndmask_b32_e64 v28, v248, v250, s[78:79]                // 000000009B60: D100001C 013BF5F8
	v_lshrrev_b32_e32 v28, 16, v28                             // 000000009B68: 20383890
	v_cmp_u_f32_e64 s[78:79], v31, v31                         // 000000009B6C: D048004E 00023F1F
	v_bfe_u32 v248, v31, 16, 1                                 // 000000009B74: D1C800F8 0205211F
	v_add3_u32 v248, v31, v248, v251                           // 000000009B7C: D1FF00F8 07EFF11F
	v_cndmask_b32_e64 v29, v248, v250, s[78:79]                // 000000009B84: D100001D 013BF5F8
	v_and_or_b32 v55, v29, v249, v28                           // 000000009B8C: D2010037 0473F31D
	v_accvgpr_read_b32 v30, a176                               // 000000009B94: D3D8401E 180001B0
	v_accvgpr_read_b32 v31, a177                               // 000000009B9C: D3D8401F 180001B1
	v_mul_f32_e32 v30, s47, v30                                // 000000009BA4: 0A3C3C2F
	v_mul_f32_e32 v31, s47, v31                                // 000000009BA8: 0A3E3E2F
	v_cmp_u_f32_e64 s[78:79], v30, v30                         // 000000009BAC: D048004E 00023D1E
	v_bfe_u32 v248, v30, 16, 1                                 // 000000009BB4: D1C800F8 0205211E
	v_add3_u32 v248, v30, v248, v251                           // 000000009BBC: D1FF00F8 07EFF11E
	v_cndmask_b32_e64 v28, v248, v250, s[78:79]                // 000000009BC4: D100001C 013BF5F8
	v_lshrrev_b32_e32 v28, 16, v28                             // 000000009BCC: 20383890
	v_cmp_u_f32_e64 s[78:79], v31, v31                         // 000000009BD0: D048004E 00023F1F
	v_bfe_u32 v248, v31, 16, 1                                 // 000000009BD8: D1C800F8 0205211F
	v_add3_u32 v248, v31, v248, v251                           // 000000009BE0: D1FF00F8 07EFF11F
	v_cndmask_b32_e64 v29, v248, v250, s[78:79]                // 000000009BE8: D100001D 013BF5F8
	v_and_or_b32 v56, v29, v249, v28                           // 000000009BF0: D2010038 0473F31D
	v_accvgpr_read_b32 v30, a178                               // 000000009BF8: D3D8401E 180001B2
	v_accvgpr_read_b32 v31, a179                               // 000000009C00: D3D8401F 180001B3
	v_mul_f32_e32 v30, s47, v30                                // 000000009C08: 0A3C3C2F
	v_mul_f32_e32 v31, s47, v31                                // 000000009C0C: 0A3E3E2F
	v_cmp_u_f32_e64 s[78:79], v30, v30                         // 000000009C10: D048004E 00023D1E
	v_bfe_u32 v248, v30, 16, 1                                 // 000000009C18: D1C800F8 0205211E
	v_add3_u32 v248, v30, v248, v251                           // 000000009C20: D1FF00F8 07EFF11E
	v_cndmask_b32_e64 v28, v248, v250, s[78:79]                // 000000009C28: D100001C 013BF5F8
	v_lshrrev_b32_e32 v28, 16, v28                             // 000000009C30: 20383890
	v_cmp_u_f32_e64 s[78:79], v31, v31                         // 000000009C34: D048004E 00023F1F
	v_bfe_u32 v248, v31, 16, 1                                 // 000000009C3C: D1C800F8 0205211F
	v_add3_u32 v248, v31, v248, v251                           // 000000009C44: D1FF00F8 07EFF11F
	v_cndmask_b32_e64 v29, v248, v250, s[78:79]                // 000000009C4C: D100001D 013BF5F8
	v_and_or_b32 v57, v29, v249, v28                           // 000000009C54: D2010039 0473F31D
	v_accvgpr_read_b32 v30, a180                               // 000000009C5C: D3D8401E 180001B4
	v_accvgpr_read_b32 v31, a181                               // 000000009C64: D3D8401F 180001B5
	v_mul_f32_e32 v30, s47, v30                                // 000000009C6C: 0A3C3C2F
	v_mul_f32_e32 v31, s47, v31                                // 000000009C70: 0A3E3E2F
	v_cmp_u_f32_e64 s[78:79], v30, v30                         // 000000009C74: D048004E 00023D1E
	v_bfe_u32 v248, v30, 16, 1                                 // 000000009C7C: D1C800F8 0205211E
	v_add3_u32 v248, v30, v248, v251                           // 000000009C84: D1FF00F8 07EFF11E
	v_cndmask_b32_e64 v28, v248, v250, s[78:79]                // 000000009C8C: D100001C 013BF5F8
	v_lshrrev_b32_e32 v28, 16, v28                             // 000000009C94: 20383890
	v_cmp_u_f32_e64 s[78:79], v31, v31                         // 000000009C98: D048004E 00023F1F
	v_bfe_u32 v248, v31, 16, 1                                 // 000000009CA0: D1C800F8 0205211F
	v_add3_u32 v248, v31, v248, v251                           // 000000009CA8: D1FF00F8 07EFF11F
	v_cndmask_b32_e64 v29, v248, v250, s[78:79]                // 000000009CB0: D100001D 013BF5F8
	v_and_or_b32 v58, v29, v249, v28                           // 000000009CB8: D201003A 0473F31D
	v_accvgpr_read_b32 v30, a182                               // 000000009CC0: D3D8401E 180001B6
	v_accvgpr_read_b32 v31, a183                               // 000000009CC8: D3D8401F 180001B7
	v_mul_f32_e32 v30, s47, v30                                // 000000009CD0: 0A3C3C2F
	v_mul_f32_e32 v31, s47, v31                                // 000000009CD4: 0A3E3E2F
	v_cmp_u_f32_e64 s[78:79], v30, v30                         // 000000009CD8: D048004E 00023D1E
	v_bfe_u32 v248, v30, 16, 1                                 // 000000009CE0: D1C800F8 0205211E
	v_add3_u32 v248, v30, v248, v251                           // 000000009CE8: D1FF00F8 07EFF11E
	v_cndmask_b32_e64 v28, v248, v250, s[78:79]                // 000000009CF0: D100001C 013BF5F8
	v_lshrrev_b32_e32 v28, 16, v28                             // 000000009CF8: 20383890
	v_cmp_u_f32_e64 s[78:79], v31, v31                         // 000000009CFC: D048004E 00023F1F
	v_bfe_u32 v248, v31, 16, 1                                 // 000000009D04: D1C800F8 0205211F
	v_add3_u32 v248, v31, v248, v251                           // 000000009D0C: D1FF00F8 07EFF11F
	v_cndmask_b32_e64 v29, v248, v250, s[78:79]                // 000000009D14: D100001D 013BF5F8
	v_and_or_b32 v59, v29, v249, v28                           // 000000009D1C: D201003B 0473F31D
	v_accvgpr_read_b32 v30, a184                               // 000000009D24: D3D8401E 180001B8
	v_accvgpr_read_b32 v31, a185                               // 000000009D2C: D3D8401F 180001B9
	v_mul_f32_e32 v30, s47, v30                                // 000000009D34: 0A3C3C2F
	v_mul_f32_e32 v31, s47, v31                                // 000000009D38: 0A3E3E2F
	v_cmp_u_f32_e64 s[78:79], v30, v30                         // 000000009D3C: D048004E 00023D1E
	v_bfe_u32 v248, v30, 16, 1                                 // 000000009D44: D1C800F8 0205211E
	v_add3_u32 v248, v30, v248, v251                           // 000000009D4C: D1FF00F8 07EFF11E
	v_cndmask_b32_e64 v28, v248, v250, s[78:79]                // 000000009D54: D100001C 013BF5F8
	v_lshrrev_b32_e32 v28, 16, v28                             // 000000009D5C: 20383890
	v_cmp_u_f32_e64 s[78:79], v31, v31                         // 000000009D60: D048004E 00023F1F
	v_bfe_u32 v248, v31, 16, 1                                 // 000000009D68: D1C800F8 0205211F
	v_add3_u32 v248, v31, v248, v251                           // 000000009D70: D1FF00F8 07EFF11F
	v_cndmask_b32_e64 v29, v248, v250, s[78:79]                // 000000009D78: D100001D 013BF5F8
	v_and_or_b32 v60, v29, v249, v28                           // 000000009D80: D201003C 0473F31D
	v_accvgpr_read_b32 v30, a186                               // 000000009D88: D3D8401E 180001BA
	v_accvgpr_read_b32 v31, a187                               // 000000009D90: D3D8401F 180001BB
	v_mul_f32_e32 v30, s47, v30                                // 000000009D98: 0A3C3C2F
	v_mul_f32_e32 v31, s47, v31                                // 000000009D9C: 0A3E3E2F
	v_cmp_u_f32_e64 s[78:79], v30, v30                         // 000000009DA0: D048004E 00023D1E
	v_bfe_u32 v248, v30, 16, 1                                 // 000000009DA8: D1C800F8 0205211E
	v_add3_u32 v248, v30, v248, v251                           // 000000009DB0: D1FF00F8 07EFF11E
	v_cndmask_b32_e64 v28, v248, v250, s[78:79]                // 000000009DB8: D100001C 013BF5F8
	v_lshrrev_b32_e32 v28, 16, v28                             // 000000009DC0: 20383890
	v_cmp_u_f32_e64 s[78:79], v31, v31                         // 000000009DC4: D048004E 00023F1F
	v_bfe_u32 v248, v31, 16, 1                                 // 000000009DCC: D1C800F8 0205211F
	v_add3_u32 v248, v31, v248, v251                           // 000000009DD4: D1FF00F8 07EFF11F
	v_cndmask_b32_e64 v29, v248, v250, s[78:79]                // 000000009DDC: D100001D 013BF5F8
	v_and_or_b32 v61, v29, v249, v28                           // 000000009DE4: D201003D 0473F31D
	v_accvgpr_read_b32 v30, a188                               // 000000009DEC: D3D8401E 180001BC
	v_accvgpr_read_b32 v31, a189                               // 000000009DF4: D3D8401F 180001BD
	v_mul_f32_e32 v30, s47, v30                                // 000000009DFC: 0A3C3C2F
	v_mul_f32_e32 v31, s47, v31                                // 000000009E00: 0A3E3E2F
	v_cmp_u_f32_e64 s[78:79], v30, v30                         // 000000009E04: D048004E 00023D1E
	v_bfe_u32 v248, v30, 16, 1                                 // 000000009E0C: D1C800F8 0205211E
	v_add3_u32 v248, v30, v248, v251                           // 000000009E14: D1FF00F8 07EFF11E
	v_cndmask_b32_e64 v28, v248, v250, s[78:79]                // 000000009E1C: D100001C 013BF5F8
	v_lshrrev_b32_e32 v28, 16, v28                             // 000000009E24: 20383890
	v_cmp_u_f32_e64 s[78:79], v31, v31                         // 000000009E28: D048004E 00023F1F
	v_bfe_u32 v248, v31, 16, 1                                 // 000000009E30: D1C800F8 0205211F
	v_add3_u32 v248, v31, v248, v251                           // 000000009E38: D1FF00F8 07EFF11F
	v_cndmask_b32_e64 v29, v248, v250, s[78:79]                // 000000009E40: D100001D 013BF5F8
	v_and_or_b32 v62, v29, v249, v28                           // 000000009E48: D201003E 0473F31D
	v_accvgpr_read_b32 v30, a190                               // 000000009E50: D3D8401E 180001BE
	v_accvgpr_read_b32 v31, a191                               // 000000009E58: D3D8401F 180001BF
	v_mul_f32_e32 v30, s47, v30                                // 000000009E60: 0A3C3C2F
	v_mul_f32_e32 v31, s47, v31                                // 000000009E64: 0A3E3E2F
	v_cmp_u_f32_e64 s[78:79], v30, v30                         // 000000009E68: D048004E 00023D1E
	v_bfe_u32 v248, v30, 16, 1                                 // 000000009E70: D1C800F8 0205211E
	v_add3_u32 v248, v30, v248, v251                           // 000000009E78: D1FF00F8 07EFF11E
	v_cndmask_b32_e64 v28, v248, v250, s[78:79]                // 000000009E80: D100001C 013BF5F8
	v_lshrrev_b32_e32 v28, 16, v28                             // 000000009E88: 20383890
	v_cmp_u_f32_e64 s[78:79], v31, v31                         // 000000009E8C: D048004E 00023F1F
	v_bfe_u32 v248, v31, 16, 1                                 // 000000009E94: D1C800F8 0205211F
	v_add3_u32 v248, v31, v248, v251                           // 000000009E9C: D1FF00F8 07EFF11F
	v_cndmask_b32_e64 v29, v248, v250, s[78:79]                // 000000009EA4: D100001D 013BF5F8
	v_and_or_b32 v63, v29, v249, v28                           // 000000009EAC: D201003F 0473F31D
	ds_write_b64 v25, v[48:49]                                 // 000000009EB4: D89A0000 00003019
	ds_write_b64 v25, v[50:51] offset:528                      // 000000009EBC: D89A0210 00003219
	ds_write_b64 v25, v[52:53] offset:1056                     // 000000009EC4: D89A0420 00003419
	ds_write_b64 v25, v[54:55] offset:1584                     // 000000009ECC: D89A0630 00003619
	ds_write_b64 v25, v[56:57] offset:2112                     // 000000009ED4: D89A0840 00003819
	ds_write_b64 v25, v[58:59] offset:2640                     // 000000009EDC: D89A0A50 00003A19
	ds_write_b64 v25, v[60:61] offset:3168                     // 000000009EE4: D89A0C60 00003C19
	ds_write_b64 v25, v[62:63] offset:3696                     // 000000009EEC: D89A0E70 00003E19
	s_waitcnt lgkmcnt(0)                                       // 000000009EF4: BF8CC07F
	s_barrier                                                  // 000000009EF8: BF8A0000
	ds_read_b64 v[48:49], v24                                  // 000000009EFC: D8EC0000 30000018
	ds_read_b64 v[50:51], v24 offset:128                       // 000000009F04: D8EC0080 32000018
	ds_read_b64 v[52:53], v24 offset:32                        // 000000009F0C: D8EC0020 34000018
	ds_read_b64 v[54:55], v24 offset:160                       // 000000009F14: D8EC00A0 36000018
	ds_read_b64 v[56:57], v24 offset:64                        // 000000009F1C: D8EC0040 38000018
	ds_read_b64 v[58:59], v24 offset:192                       // 000000009F24: D8EC00C0 3A000018
	ds_read_b64 v[60:61], v24 offset:96                        // 000000009F2C: D8EC0060 3C000018
	ds_read_b64 v[62:63], v24 offset:224                       // 000000009F34: D8EC00E0 3E000018
	s_waitcnt lgkmcnt(0)                                       // 000000009F3C: BF8CC07F
	s_mov_b32 s70, s52                                         // 000000009F40: BEC60034
	s_mov_b64 exec, s[82:83]                                   // 000000009F44: BEFE0152
	buffer_store_dwordx4 v[48:51], v5, s[36:39], 0 idxen       // 000000009F48: E07C2000 80093005
	s_mov_b32 exec_lo, -1                                      // 000000009F50: BEFE00C1
	s_mov_b32 exec_hi, -1                                      // 000000009F54: BEFF00C1
	v_add_u32_e32 v5, s70, v5                                  // 000000009F58: 680A0A46
	s_mov_b64 exec, s[82:83]                                   // 000000009F5C: BEFE0152
	buffer_store_dwordx4 v[52:55], v5, s[36:39], 0 idxen       // 000000009F60: E07C2000 80093405
	s_mov_b32 exec_lo, -1                                      // 000000009F68: BEFE00C1
	s_mov_b32 exec_hi, -1                                      // 000000009F6C: BEFF00C1
	v_add_u32_e32 v5, s70, v5                                  // 000000009F70: 680A0A46
	s_mov_b64 exec, s[82:83]                                   // 000000009F74: BEFE0152
	buffer_store_dwordx4 v[56:59], v5, s[36:39], 0 idxen       // 000000009F78: E07C2000 80093805
	s_mov_b32 exec_lo, -1                                      // 000000009F80: BEFE00C1
	s_mov_b32 exec_hi, -1                                      // 000000009F84: BEFF00C1
	v_add_u32_e32 v5, s70, v5                                  // 000000009F88: 680A0A46
	s_mov_b64 exec, s[82:83]                                   // 000000009F8C: BEFE0152
	buffer_store_dwordx4 v[60:63], v5, s[36:39], 0 idxen       // 000000009F90: E07C2000 80093C05
	s_mov_b32 exec_lo, -1                                      // 000000009F98: BEFE00C1
	s_mov_b32 exec_hi, -1                                      // 000000009F9C: BEFF00C1
	v_add_u32_e32 v5, s70, v5                                  // 000000009FA0: 680A0A46
	s_mul_i32 s60, 12, s70                                     // 000000009FA4: 923C468C
	v_add_u32_e32 v5, s60, v5                                  // 000000009FA8: 680A0A3C
	s_barrier                                                  // 000000009FAC: BF8A0000
	s_cmp_ge_i32 1, s72                                        // 000000009FB0: BF034881
	s_cbranch_scc1 label_1C24                                  // 000000009FB4: BF8503A2
	v_accvgpr_read_b32 v30, a192                               // 000000009FB8: D3D8401E 180001C0
	v_accvgpr_read_b32 v31, a193                               // 000000009FC0: D3D8401F 180001C1
	v_mul_f32_e32 v30, s47, v30                                // 000000009FC8: 0A3C3C2F
	v_mul_f32_e32 v31, s47, v31                                // 000000009FCC: 0A3E3E2F
	v_cmp_u_f32_e64 s[78:79], v30, v30                         // 000000009FD0: D048004E 00023D1E
	v_bfe_u32 v248, v30, 16, 1                                 // 000000009FD8: D1C800F8 0205211E
	v_add3_u32 v248, v30, v248, v251                           // 000000009FE0: D1FF00F8 07EFF11E
	v_cndmask_b32_e64 v28, v248, v250, s[78:79]                // 000000009FE8: D100001C 013BF5F8
	v_lshrrev_b32_e32 v28, 16, v28                             // 000000009FF0: 20383890
	v_cmp_u_f32_e64 s[78:79], v31, v31                         // 000000009FF4: D048004E 00023F1F
	v_bfe_u32 v248, v31, 16, 1                                 // 000000009FFC: D1C800F8 0205211F
	v_add3_u32 v248, v31, v248, v251                           // 00000000A004: D1FF00F8 07EFF11F
	v_cndmask_b32_e64 v29, v248, v250, s[78:79]                // 00000000A00C: D100001D 013BF5F8
	v_and_or_b32 v64, v29, v249, v28                           // 00000000A014: D2010040 0473F31D
	v_accvgpr_read_b32 v30, a194                               // 00000000A01C: D3D8401E 180001C2
	v_accvgpr_read_b32 v31, a195                               // 00000000A024: D3D8401F 180001C3
	v_mul_f32_e32 v30, s47, v30                                // 00000000A02C: 0A3C3C2F
	v_mul_f32_e32 v31, s47, v31                                // 00000000A030: 0A3E3E2F
	v_cmp_u_f32_e64 s[78:79], v30, v30                         // 00000000A034: D048004E 00023D1E
	v_bfe_u32 v248, v30, 16, 1                                 // 00000000A03C: D1C800F8 0205211E
	v_add3_u32 v248, v30, v248, v251                           // 00000000A044: D1FF00F8 07EFF11E
	v_cndmask_b32_e64 v28, v248, v250, s[78:79]                // 00000000A04C: D100001C 013BF5F8
	v_lshrrev_b32_e32 v28, 16, v28                             // 00000000A054: 20383890
	v_cmp_u_f32_e64 s[78:79], v31, v31                         // 00000000A058: D048004E 00023F1F
	v_bfe_u32 v248, v31, 16, 1                                 // 00000000A060: D1C800F8 0205211F
	v_add3_u32 v248, v31, v248, v251                           // 00000000A068: D1FF00F8 07EFF11F
	v_cndmask_b32_e64 v29, v248, v250, s[78:79]                // 00000000A070: D100001D 013BF5F8
	v_and_or_b32 v65, v29, v249, v28                           // 00000000A078: D2010041 0473F31D
	v_accvgpr_read_b32 v30, a196                               // 00000000A080: D3D8401E 180001C4
	v_accvgpr_read_b32 v31, a197                               // 00000000A088: D3D8401F 180001C5
	v_mul_f32_e32 v30, s47, v30                                // 00000000A090: 0A3C3C2F
	v_mul_f32_e32 v31, s47, v31                                // 00000000A094: 0A3E3E2F
	v_cmp_u_f32_e64 s[78:79], v30, v30                         // 00000000A098: D048004E 00023D1E
	v_bfe_u32 v248, v30, 16, 1                                 // 00000000A0A0: D1C800F8 0205211E
	v_add3_u32 v248, v30, v248, v251                           // 00000000A0A8: D1FF00F8 07EFF11E
	v_cndmask_b32_e64 v28, v248, v250, s[78:79]                // 00000000A0B0: D100001C 013BF5F8
	v_lshrrev_b32_e32 v28, 16, v28                             // 00000000A0B8: 20383890
	v_cmp_u_f32_e64 s[78:79], v31, v31                         // 00000000A0BC: D048004E 00023F1F
	v_bfe_u32 v248, v31, 16, 1                                 // 00000000A0C4: D1C800F8 0205211F
	v_add3_u32 v248, v31, v248, v251                           // 00000000A0CC: D1FF00F8 07EFF11F
	v_cndmask_b32_e64 v29, v248, v250, s[78:79]                // 00000000A0D4: D100001D 013BF5F8
	v_and_or_b32 v66, v29, v249, v28                           // 00000000A0DC: D2010042 0473F31D
	v_accvgpr_read_b32 v30, a198                               // 00000000A0E4: D3D8401E 180001C6
	v_accvgpr_read_b32 v31, a199                               // 00000000A0EC: D3D8401F 180001C7
	v_mul_f32_e32 v30, s47, v30                                // 00000000A0F4: 0A3C3C2F
	v_mul_f32_e32 v31, s47, v31                                // 00000000A0F8: 0A3E3E2F
	v_cmp_u_f32_e64 s[78:79], v30, v30                         // 00000000A0FC: D048004E 00023D1E
	v_bfe_u32 v248, v30, 16, 1                                 // 00000000A104: D1C800F8 0205211E
	v_add3_u32 v248, v30, v248, v251                           // 00000000A10C: D1FF00F8 07EFF11E
	v_cndmask_b32_e64 v28, v248, v250, s[78:79]                // 00000000A114: D100001C 013BF5F8
	v_lshrrev_b32_e32 v28, 16, v28                             // 00000000A11C: 20383890
	v_cmp_u_f32_e64 s[78:79], v31, v31                         // 00000000A120: D048004E 00023F1F
	v_bfe_u32 v248, v31, 16, 1                                 // 00000000A128: D1C800F8 0205211F
	v_add3_u32 v248, v31, v248, v251                           // 00000000A130: D1FF00F8 07EFF11F
	v_cndmask_b32_e64 v29, v248, v250, s[78:79]                // 00000000A138: D100001D 013BF5F8
	v_and_or_b32 v67, v29, v249, v28                           // 00000000A140: D2010043 0473F31D
	v_accvgpr_read_b32 v30, a200                               // 00000000A148: D3D8401E 180001C8
	v_accvgpr_read_b32 v31, a201                               // 00000000A150: D3D8401F 180001C9
	v_mul_f32_e32 v30, s47, v30                                // 00000000A158: 0A3C3C2F
	v_mul_f32_e32 v31, s47, v31                                // 00000000A15C: 0A3E3E2F
	v_cmp_u_f32_e64 s[78:79], v30, v30                         // 00000000A160: D048004E 00023D1E
	v_bfe_u32 v248, v30, 16, 1                                 // 00000000A168: D1C800F8 0205211E
	v_add3_u32 v248, v30, v248, v251                           // 00000000A170: D1FF00F8 07EFF11E
	v_cndmask_b32_e64 v28, v248, v250, s[78:79]                // 00000000A178: D100001C 013BF5F8
	v_lshrrev_b32_e32 v28, 16, v28                             // 00000000A180: 20383890
	v_cmp_u_f32_e64 s[78:79], v31, v31                         // 00000000A184: D048004E 00023F1F
	v_bfe_u32 v248, v31, 16, 1                                 // 00000000A18C: D1C800F8 0205211F
	v_add3_u32 v248, v31, v248, v251                           // 00000000A194: D1FF00F8 07EFF11F
	v_cndmask_b32_e64 v29, v248, v250, s[78:79]                // 00000000A19C: D100001D 013BF5F8
	v_and_or_b32 v68, v29, v249, v28                           // 00000000A1A4: D2010044 0473F31D
	v_accvgpr_read_b32 v30, a202                               // 00000000A1AC: D3D8401E 180001CA
	v_accvgpr_read_b32 v31, a203                               // 00000000A1B4: D3D8401F 180001CB
	v_mul_f32_e32 v30, s47, v30                                // 00000000A1BC: 0A3C3C2F
	v_mul_f32_e32 v31, s47, v31                                // 00000000A1C0: 0A3E3E2F
	v_cmp_u_f32_e64 s[78:79], v30, v30                         // 00000000A1C4: D048004E 00023D1E
	v_bfe_u32 v248, v30, 16, 1                                 // 00000000A1CC: D1C800F8 0205211E
	v_add3_u32 v248, v30, v248, v251                           // 00000000A1D4: D1FF00F8 07EFF11E
	v_cndmask_b32_e64 v28, v248, v250, s[78:79]                // 00000000A1DC: D100001C 013BF5F8
	v_lshrrev_b32_e32 v28, 16, v28                             // 00000000A1E4: 20383890
	v_cmp_u_f32_e64 s[78:79], v31, v31                         // 00000000A1E8: D048004E 00023F1F
	v_bfe_u32 v248, v31, 16, 1                                 // 00000000A1F0: D1C800F8 0205211F
	v_add3_u32 v248, v31, v248, v251                           // 00000000A1F8: D1FF00F8 07EFF11F
	v_cndmask_b32_e64 v29, v248, v250, s[78:79]                // 00000000A200: D100001D 013BF5F8
	v_and_or_b32 v69, v29, v249, v28                           // 00000000A208: D2010045 0473F31D
	v_accvgpr_read_b32 v30, a204                               // 00000000A210: D3D8401E 180001CC
	v_accvgpr_read_b32 v31, a205                               // 00000000A218: D3D8401F 180001CD
	v_mul_f32_e32 v30, s47, v30                                // 00000000A220: 0A3C3C2F
	v_mul_f32_e32 v31, s47, v31                                // 00000000A224: 0A3E3E2F
	v_cmp_u_f32_e64 s[78:79], v30, v30                         // 00000000A228: D048004E 00023D1E
	v_bfe_u32 v248, v30, 16, 1                                 // 00000000A230: D1C800F8 0205211E
	v_add3_u32 v248, v30, v248, v251                           // 00000000A238: D1FF00F8 07EFF11E
	v_cndmask_b32_e64 v28, v248, v250, s[78:79]                // 00000000A240: D100001C 013BF5F8
	v_lshrrev_b32_e32 v28, 16, v28                             // 00000000A248: 20383890
	v_cmp_u_f32_e64 s[78:79], v31, v31                         // 00000000A24C: D048004E 00023F1F
	v_bfe_u32 v248, v31, 16, 1                                 // 00000000A254: D1C800F8 0205211F
	v_add3_u32 v248, v31, v248, v251                           // 00000000A25C: D1FF00F8 07EFF11F
	v_cndmask_b32_e64 v29, v248, v250, s[78:79]                // 00000000A264: D100001D 013BF5F8
	v_and_or_b32 v70, v29, v249, v28                           // 00000000A26C: D2010046 0473F31D
	v_accvgpr_read_b32 v30, a206                               // 00000000A274: D3D8401E 180001CE
	v_accvgpr_read_b32 v31, a207                               // 00000000A27C: D3D8401F 180001CF
	v_mul_f32_e32 v30, s47, v30                                // 00000000A284: 0A3C3C2F
	v_mul_f32_e32 v31, s47, v31                                // 00000000A288: 0A3E3E2F
	v_cmp_u_f32_e64 s[78:79], v30, v30                         // 00000000A28C: D048004E 00023D1E
	v_bfe_u32 v248, v30, 16, 1                                 // 00000000A294: D1C800F8 0205211E
	v_add3_u32 v248, v30, v248, v251                           // 00000000A29C: D1FF00F8 07EFF11E
	v_cndmask_b32_e64 v28, v248, v250, s[78:79]                // 00000000A2A4: D100001C 013BF5F8
	v_lshrrev_b32_e32 v28, 16, v28                             // 00000000A2AC: 20383890
	v_cmp_u_f32_e64 s[78:79], v31, v31                         // 00000000A2B0: D048004E 00023F1F
	v_bfe_u32 v248, v31, 16, 1                                 // 00000000A2B8: D1C800F8 0205211F
	v_add3_u32 v248, v31, v248, v251                           // 00000000A2C0: D1FF00F8 07EFF11F
	v_cndmask_b32_e64 v29, v248, v250, s[78:79]                // 00000000A2C8: D100001D 013BF5F8
	v_and_or_b32 v71, v29, v249, v28                           // 00000000A2D0: D2010047 0473F31D
	v_accvgpr_read_b32 v30, a208                               // 00000000A2D8: D3D8401E 180001D0
	v_accvgpr_read_b32 v31, a209                               // 00000000A2E0: D3D8401F 180001D1
	v_mul_f32_e32 v30, s47, v30                                // 00000000A2E8: 0A3C3C2F
	v_mul_f32_e32 v31, s47, v31                                // 00000000A2EC: 0A3E3E2F
	v_cmp_u_f32_e64 s[78:79], v30, v30                         // 00000000A2F0: D048004E 00023D1E
	v_bfe_u32 v248, v30, 16, 1                                 // 00000000A2F8: D1C800F8 0205211E
	v_add3_u32 v248, v30, v248, v251                           // 00000000A300: D1FF00F8 07EFF11E
	v_cndmask_b32_e64 v28, v248, v250, s[78:79]                // 00000000A308: D100001C 013BF5F8
	v_lshrrev_b32_e32 v28, 16, v28                             // 00000000A310: 20383890
	v_cmp_u_f32_e64 s[78:79], v31, v31                         // 00000000A314: D048004E 00023F1F
	v_bfe_u32 v248, v31, 16, 1                                 // 00000000A31C: D1C800F8 0205211F
	v_add3_u32 v248, v31, v248, v251                           // 00000000A324: D1FF00F8 07EFF11F
	v_cndmask_b32_e64 v29, v248, v250, s[78:79]                // 00000000A32C: D100001D 013BF5F8
	v_and_or_b32 v72, v29, v249, v28                           // 00000000A334: D2010048 0473F31D
	v_accvgpr_read_b32 v30, a210                               // 00000000A33C: D3D8401E 180001D2
	v_accvgpr_read_b32 v31, a211                               // 00000000A344: D3D8401F 180001D3
	v_mul_f32_e32 v30, s47, v30                                // 00000000A34C: 0A3C3C2F
	v_mul_f32_e32 v31, s47, v31                                // 00000000A350: 0A3E3E2F
	v_cmp_u_f32_e64 s[78:79], v30, v30                         // 00000000A354: D048004E 00023D1E
	v_bfe_u32 v248, v30, 16, 1                                 // 00000000A35C: D1C800F8 0205211E
	v_add3_u32 v248, v30, v248, v251                           // 00000000A364: D1FF00F8 07EFF11E
	v_cndmask_b32_e64 v28, v248, v250, s[78:79]                // 00000000A36C: D100001C 013BF5F8
	v_lshrrev_b32_e32 v28, 16, v28                             // 00000000A374: 20383890
	v_cmp_u_f32_e64 s[78:79], v31, v31                         // 00000000A378: D048004E 00023F1F
	v_bfe_u32 v248, v31, 16, 1                                 // 00000000A380: D1C800F8 0205211F
	v_add3_u32 v248, v31, v248, v251                           // 00000000A388: D1FF00F8 07EFF11F
	v_cndmask_b32_e64 v29, v248, v250, s[78:79]                // 00000000A390: D100001D 013BF5F8
	v_and_or_b32 v73, v29, v249, v28                           // 00000000A398: D2010049 0473F31D
	v_accvgpr_read_b32 v30, a212                               // 00000000A3A0: D3D8401E 180001D4
	v_accvgpr_read_b32 v31, a213                               // 00000000A3A8: D3D8401F 180001D5
	v_mul_f32_e32 v30, s47, v30                                // 00000000A3B0: 0A3C3C2F
	v_mul_f32_e32 v31, s47, v31                                // 00000000A3B4: 0A3E3E2F
	v_cmp_u_f32_e64 s[78:79], v30, v30                         // 00000000A3B8: D048004E 00023D1E
	v_bfe_u32 v248, v30, 16, 1                                 // 00000000A3C0: D1C800F8 0205211E
	v_add3_u32 v248, v30, v248, v251                           // 00000000A3C8: D1FF00F8 07EFF11E
	v_cndmask_b32_e64 v28, v248, v250, s[78:79]                // 00000000A3D0: D100001C 013BF5F8
	v_lshrrev_b32_e32 v28, 16, v28                             // 00000000A3D8: 20383890
	v_cmp_u_f32_e64 s[78:79], v31, v31                         // 00000000A3DC: D048004E 00023F1F
	v_bfe_u32 v248, v31, 16, 1                                 // 00000000A3E4: D1C800F8 0205211F
	v_add3_u32 v248, v31, v248, v251                           // 00000000A3EC: D1FF00F8 07EFF11F
	v_cndmask_b32_e64 v29, v248, v250, s[78:79]                // 00000000A3F4: D100001D 013BF5F8
	v_and_or_b32 v74, v29, v249, v28                           // 00000000A3FC: D201004A 0473F31D
	v_accvgpr_read_b32 v30, a214                               // 00000000A404: D3D8401E 180001D6
	v_accvgpr_read_b32 v31, a215                               // 00000000A40C: D3D8401F 180001D7
	v_mul_f32_e32 v30, s47, v30                                // 00000000A414: 0A3C3C2F
	v_mul_f32_e32 v31, s47, v31                                // 00000000A418: 0A3E3E2F
	v_cmp_u_f32_e64 s[78:79], v30, v30                         // 00000000A41C: D048004E 00023D1E
	v_bfe_u32 v248, v30, 16, 1                                 // 00000000A424: D1C800F8 0205211E
	v_add3_u32 v248, v30, v248, v251                           // 00000000A42C: D1FF00F8 07EFF11E
	v_cndmask_b32_e64 v28, v248, v250, s[78:79]                // 00000000A434: D100001C 013BF5F8
	v_lshrrev_b32_e32 v28, 16, v28                             // 00000000A43C: 20383890
	v_cmp_u_f32_e64 s[78:79], v31, v31                         // 00000000A440: D048004E 00023F1F
	v_bfe_u32 v248, v31, 16, 1                                 // 00000000A448: D1C800F8 0205211F
	v_add3_u32 v248, v31, v248, v251                           // 00000000A450: D1FF00F8 07EFF11F
	v_cndmask_b32_e64 v29, v248, v250, s[78:79]                // 00000000A458: D100001D 013BF5F8
	v_and_or_b32 v75, v29, v249, v28                           // 00000000A460: D201004B 0473F31D
	v_accvgpr_read_b32 v30, a216                               // 00000000A468: D3D8401E 180001D8
	v_accvgpr_read_b32 v31, a217                               // 00000000A470: D3D8401F 180001D9
	v_mul_f32_e32 v30, s47, v30                                // 00000000A478: 0A3C3C2F
	v_mul_f32_e32 v31, s47, v31                                // 00000000A47C: 0A3E3E2F
	v_cmp_u_f32_e64 s[78:79], v30, v30                         // 00000000A480: D048004E 00023D1E
	v_bfe_u32 v248, v30, 16, 1                                 // 00000000A488: D1C800F8 0205211E
	v_add3_u32 v248, v30, v248, v251                           // 00000000A490: D1FF00F8 07EFF11E
	v_cndmask_b32_e64 v28, v248, v250, s[78:79]                // 00000000A498: D100001C 013BF5F8
	v_lshrrev_b32_e32 v28, 16, v28                             // 00000000A4A0: 20383890
	v_cmp_u_f32_e64 s[78:79], v31, v31                         // 00000000A4A4: D048004E 00023F1F
	v_bfe_u32 v248, v31, 16, 1                                 // 00000000A4AC: D1C800F8 0205211F
	v_add3_u32 v248, v31, v248, v251                           // 00000000A4B4: D1FF00F8 07EFF11F
	v_cndmask_b32_e64 v29, v248, v250, s[78:79]                // 00000000A4BC: D100001D 013BF5F8
	v_and_or_b32 v76, v29, v249, v28                           // 00000000A4C4: D201004C 0473F31D
	v_accvgpr_read_b32 v30, a218                               // 00000000A4CC: D3D8401E 180001DA
	v_accvgpr_read_b32 v31, a219                               // 00000000A4D4: D3D8401F 180001DB
	v_mul_f32_e32 v30, s47, v30                                // 00000000A4DC: 0A3C3C2F
	v_mul_f32_e32 v31, s47, v31                                // 00000000A4E0: 0A3E3E2F
	v_cmp_u_f32_e64 s[78:79], v30, v30                         // 00000000A4E4: D048004E 00023D1E
	v_bfe_u32 v248, v30, 16, 1                                 // 00000000A4EC: D1C800F8 0205211E
	v_add3_u32 v248, v30, v248, v251                           // 00000000A4F4: D1FF00F8 07EFF11E
	v_cndmask_b32_e64 v28, v248, v250, s[78:79]                // 00000000A4FC: D100001C 013BF5F8
	v_lshrrev_b32_e32 v28, 16, v28                             // 00000000A504: 20383890
	v_cmp_u_f32_e64 s[78:79], v31, v31                         // 00000000A508: D048004E 00023F1F
	v_bfe_u32 v248, v31, 16, 1                                 // 00000000A510: D1C800F8 0205211F
	v_add3_u32 v248, v31, v248, v251                           // 00000000A518: D1FF00F8 07EFF11F
	v_cndmask_b32_e64 v29, v248, v250, s[78:79]                // 00000000A520: D100001D 013BF5F8
	v_and_or_b32 v77, v29, v249, v28                           // 00000000A528: D201004D 0473F31D
	v_accvgpr_read_b32 v30, a220                               // 00000000A530: D3D8401E 180001DC
	v_accvgpr_read_b32 v31, a221                               // 00000000A538: D3D8401F 180001DD
	v_mul_f32_e32 v30, s47, v30                                // 00000000A540: 0A3C3C2F
	v_mul_f32_e32 v31, s47, v31                                // 00000000A544: 0A3E3E2F
	v_cmp_u_f32_e64 s[78:79], v30, v30                         // 00000000A548: D048004E 00023D1E
	v_bfe_u32 v248, v30, 16, 1                                 // 00000000A550: D1C800F8 0205211E
	v_add3_u32 v248, v30, v248, v251                           // 00000000A558: D1FF00F8 07EFF11E
	v_cndmask_b32_e64 v28, v248, v250, s[78:79]                // 00000000A560: D100001C 013BF5F8
	v_lshrrev_b32_e32 v28, 16, v28                             // 00000000A568: 20383890
	v_cmp_u_f32_e64 s[78:79], v31, v31                         // 00000000A56C: D048004E 00023F1F
	v_bfe_u32 v248, v31, 16, 1                                 // 00000000A574: D1C800F8 0205211F
	v_add3_u32 v248, v31, v248, v251                           // 00000000A57C: D1FF00F8 07EFF11F
	v_cndmask_b32_e64 v29, v248, v250, s[78:79]                // 00000000A584: D100001D 013BF5F8
	v_and_or_b32 v78, v29, v249, v28                           // 00000000A58C: D201004E 0473F31D
	v_accvgpr_read_b32 v30, a222                               // 00000000A594: D3D8401E 180001DE
	v_accvgpr_read_b32 v31, a223                               // 00000000A59C: D3D8401F 180001DF
	v_mul_f32_e32 v30, s47, v30                                // 00000000A5A4: 0A3C3C2F
	v_mul_f32_e32 v31, s47, v31                                // 00000000A5A8: 0A3E3E2F
	v_cmp_u_f32_e64 s[78:79], v30, v30                         // 00000000A5AC: D048004E 00023D1E
	v_bfe_u32 v248, v30, 16, 1                                 // 00000000A5B4: D1C800F8 0205211E
	v_add3_u32 v248, v30, v248, v251                           // 00000000A5BC: D1FF00F8 07EFF11E
	v_cndmask_b32_e64 v28, v248, v250, s[78:79]                // 00000000A5C4: D100001C 013BF5F8
	v_lshrrev_b32_e32 v28, 16, v28                             // 00000000A5CC: 20383890
	v_cmp_u_f32_e64 s[78:79], v31, v31                         // 00000000A5D0: D048004E 00023F1F
	v_bfe_u32 v248, v31, 16, 1                                 // 00000000A5D8: D1C800F8 0205211F
	v_add3_u32 v248, v31, v248, v251                           // 00000000A5E0: D1FF00F8 07EFF11F
	v_cndmask_b32_e64 v29, v248, v250, s[78:79]                // 00000000A5E8: D100001D 013BF5F8
	v_and_or_b32 v79, v29, v249, v28                           // 00000000A5F0: D201004F 0473F31D
	ds_write_b64 v25, v[64:65] offset:16896                    // 00000000A5F8: D89A4200 00004019
	ds_write_b64 v25, v[66:67] offset:17424                    // 00000000A600: D89A4410 00004219
	ds_write_b64 v25, v[68:69] offset:17952                    // 00000000A608: D89A4620 00004419
	ds_write_b64 v25, v[70:71] offset:18480                    // 00000000A610: D89A4830 00004619
	ds_write_b64 v25, v[72:73] offset:19008                    // 00000000A618: D89A4A40 00004819
	ds_write_b64 v25, v[74:75] offset:19536                    // 00000000A620: D89A4C50 00004A19
	ds_write_b64 v25, v[76:77] offset:20064                    // 00000000A628: D89A4E60 00004C19
	ds_write_b64 v25, v[78:79] offset:20592                    // 00000000A630: D89A5070 00004E19
	s_waitcnt lgkmcnt(0)                                       // 00000000A638: BF8CC07F
	s_barrier                                                  // 00000000A63C: BF8A0000
	ds_read_b64 v[64:65], v24 offset:16896                     // 00000000A640: D8EC4200 40000018
	ds_read_b64 v[66:67], v24 offset:17024                     // 00000000A648: D8EC4280 42000018
	ds_read_b64 v[68:69], v24 offset:16928                     // 00000000A650: D8EC4220 44000018
	ds_read_b64 v[70:71], v24 offset:17056                     // 00000000A658: D8EC42A0 46000018
	ds_read_b64 v[72:73], v24 offset:16960                     // 00000000A660: D8EC4240 48000018
	ds_read_b64 v[74:75], v24 offset:17088                     // 00000000A668: D8EC42C0 4A000018
	ds_read_b64 v[76:77], v24 offset:16992                     // 00000000A670: D8EC4260 4C000018
	ds_read_b64 v[78:79], v24 offset:17120                     // 00000000A678: D8EC42E0 4E000018
	s_waitcnt lgkmcnt(0)                                       // 00000000A680: BF8CC07F
	s_mov_b32 s70, s52                                         // 00000000A684: BEC60034
	s_mov_b64 exec, s[82:83]                                   // 00000000A688: BEFE0152
	buffer_store_dwordx4 v[64:67], v5, s[36:39], 0 idxen       // 00000000A68C: E07C2000 80094005
	s_mov_b32 exec_lo, -1                                      // 00000000A694: BEFE00C1
	s_mov_b32 exec_hi, -1                                      // 00000000A698: BEFF00C1
	v_add_u32_e32 v5, s70, v5                                  // 00000000A69C: 680A0A46
	s_mov_b64 exec, s[82:83]                                   // 00000000A6A0: BEFE0152
	buffer_store_dwordx4 v[68:71], v5, s[36:39], 0 idxen       // 00000000A6A4: E07C2000 80094405
	s_mov_b32 exec_lo, -1                                      // 00000000A6AC: BEFE00C1
	s_mov_b32 exec_hi, -1                                      // 00000000A6B0: BEFF00C1
	v_add_u32_e32 v5, s70, v5                                  // 00000000A6B4: 680A0A46
	s_mov_b64 exec, s[82:83]                                   // 00000000A6B8: BEFE0152
	buffer_store_dwordx4 v[72:75], v5, s[36:39], 0 idxen       // 00000000A6BC: E07C2000 80094805
	s_mov_b32 exec_lo, -1                                      // 00000000A6C4: BEFE00C1
	s_mov_b32 exec_hi, -1                                      // 00000000A6C8: BEFF00C1
	v_add_u32_e32 v5, s70, v5                                  // 00000000A6CC: 680A0A46
	s_mov_b64 exec, s[82:83]                                   // 00000000A6D0: BEFE0152
	buffer_store_dwordx4 v[76:79], v5, s[36:39], 0 idxen       // 00000000A6D4: E07C2000 80094C05
	s_mov_b32 exec_lo, -1                                      // 00000000A6DC: BEFE00C1
	s_mov_b32 exec_hi, -1                                      // 00000000A6E0: BEFF00C1
	v_add_u32_e32 v5, s70, v5                                  // 00000000A6E4: 680A0A46
	s_mul_i32 s60, 12, s70                                     // 00000000A6E8: 923C468C
	v_add_u32_e32 v5, s60, v5                                  // 00000000A6EC: 680A0A3C
	s_barrier                                                  // 00000000A6F0: BF8A0000
	s_cmp_ge_i32 2, s72                                        // 00000000A6F4: BF034882
	s_cbranch_scc1 label_1C24                                  // 00000000A6F8: BF8501D1
	v_accvgpr_read_b32 v30, a224                               // 00000000A6FC: D3D8401E 180001E0
	v_accvgpr_read_b32 v31, a225                               // 00000000A704: D3D8401F 180001E1
	v_mul_f32_e32 v30, s47, v30                                // 00000000A70C: 0A3C3C2F
	v_mul_f32_e32 v31, s47, v31                                // 00000000A710: 0A3E3E2F
	v_cmp_u_f32_e64 s[78:79], v30, v30                         // 00000000A714: D048004E 00023D1E
	v_bfe_u32 v248, v30, 16, 1                                 // 00000000A71C: D1C800F8 0205211E
	v_add3_u32 v248, v30, v248, v251                           // 00000000A724: D1FF00F8 07EFF11E
	v_cndmask_b32_e64 v28, v248, v250, s[78:79]                // 00000000A72C: D100001C 013BF5F8
	v_lshrrev_b32_e32 v28, 16, v28                             // 00000000A734: 20383890
	v_cmp_u_f32_e64 s[78:79], v31, v31                         // 00000000A738: D048004E 00023F1F
	v_bfe_u32 v248, v31, 16, 1                                 // 00000000A740: D1C800F8 0205211F
	v_add3_u32 v248, v31, v248, v251                           // 00000000A748: D1FF00F8 07EFF11F
	v_cndmask_b32_e64 v29, v248, v250, s[78:79]                // 00000000A750: D100001D 013BF5F8
	v_and_or_b32 v80, v29, v249, v28                           // 00000000A758: D2010050 0473F31D
	v_accvgpr_read_b32 v30, a226                               // 00000000A760: D3D8401E 180001E2
	v_accvgpr_read_b32 v31, a227                               // 00000000A768: D3D8401F 180001E3
	v_mul_f32_e32 v30, s47, v30                                // 00000000A770: 0A3C3C2F
	v_mul_f32_e32 v31, s47, v31                                // 00000000A774: 0A3E3E2F
	v_cmp_u_f32_e64 s[78:79], v30, v30                         // 00000000A778: D048004E 00023D1E
	v_bfe_u32 v248, v30, 16, 1                                 // 00000000A780: D1C800F8 0205211E
	v_add3_u32 v248, v30, v248, v251                           // 00000000A788: D1FF00F8 07EFF11E
	v_cndmask_b32_e64 v28, v248, v250, s[78:79]                // 00000000A790: D100001C 013BF5F8
	v_lshrrev_b32_e32 v28, 16, v28                             // 00000000A798: 20383890
	v_cmp_u_f32_e64 s[78:79], v31, v31                         // 00000000A79C: D048004E 00023F1F
	v_bfe_u32 v248, v31, 16, 1                                 // 00000000A7A4: D1C800F8 0205211F
	v_add3_u32 v248, v31, v248, v251                           // 00000000A7AC: D1FF00F8 07EFF11F
	v_cndmask_b32_e64 v29, v248, v250, s[78:79]                // 00000000A7B4: D100001D 013BF5F8
	v_and_or_b32 v81, v29, v249, v28                           // 00000000A7BC: D2010051 0473F31D
	v_accvgpr_read_b32 v30, a228                               // 00000000A7C4: D3D8401E 180001E4
	v_accvgpr_read_b32 v31, a229                               // 00000000A7CC: D3D8401F 180001E5
	v_mul_f32_e32 v30, s47, v30                                // 00000000A7D4: 0A3C3C2F
	v_mul_f32_e32 v31, s47, v31                                // 00000000A7D8: 0A3E3E2F
	v_cmp_u_f32_e64 s[78:79], v30, v30                         // 00000000A7DC: D048004E 00023D1E
	v_bfe_u32 v248, v30, 16, 1                                 // 00000000A7E4: D1C800F8 0205211E
	v_add3_u32 v248, v30, v248, v251                           // 00000000A7EC: D1FF00F8 07EFF11E
	v_cndmask_b32_e64 v28, v248, v250, s[78:79]                // 00000000A7F4: D100001C 013BF5F8
	v_lshrrev_b32_e32 v28, 16, v28                             // 00000000A7FC: 20383890
	v_cmp_u_f32_e64 s[78:79], v31, v31                         // 00000000A800: D048004E 00023F1F
	v_bfe_u32 v248, v31, 16, 1                                 // 00000000A808: D1C800F8 0205211F
	v_add3_u32 v248, v31, v248, v251                           // 00000000A810: D1FF00F8 07EFF11F
	v_cndmask_b32_e64 v29, v248, v250, s[78:79]                // 00000000A818: D100001D 013BF5F8
	v_and_or_b32 v82, v29, v249, v28                           // 00000000A820: D2010052 0473F31D
	v_accvgpr_read_b32 v30, a230                               // 00000000A828: D3D8401E 180001E6
	v_accvgpr_read_b32 v31, a231                               // 00000000A830: D3D8401F 180001E7
	v_mul_f32_e32 v30, s47, v30                                // 00000000A838: 0A3C3C2F
	v_mul_f32_e32 v31, s47, v31                                // 00000000A83C: 0A3E3E2F
	v_cmp_u_f32_e64 s[78:79], v30, v30                         // 00000000A840: D048004E 00023D1E
	v_bfe_u32 v248, v30, 16, 1                                 // 00000000A848: D1C800F8 0205211E
	v_add3_u32 v248, v30, v248, v251                           // 00000000A850: D1FF00F8 07EFF11E
	v_cndmask_b32_e64 v28, v248, v250, s[78:79]                // 00000000A858: D100001C 013BF5F8
	v_lshrrev_b32_e32 v28, 16, v28                             // 00000000A860: 20383890
	v_cmp_u_f32_e64 s[78:79], v31, v31                         // 00000000A864: D048004E 00023F1F
	v_bfe_u32 v248, v31, 16, 1                                 // 00000000A86C: D1C800F8 0205211F
	v_add3_u32 v248, v31, v248, v251                           // 00000000A874: D1FF00F8 07EFF11F
	v_cndmask_b32_e64 v29, v248, v250, s[78:79]                // 00000000A87C: D100001D 013BF5F8
	v_and_or_b32 v83, v29, v249, v28                           // 00000000A884: D2010053 0473F31D
	v_accvgpr_read_b32 v30, a232                               // 00000000A88C: D3D8401E 180001E8
	v_accvgpr_read_b32 v31, a233                               // 00000000A894: D3D8401F 180001E9
	v_mul_f32_e32 v30, s47, v30                                // 00000000A89C: 0A3C3C2F
	v_mul_f32_e32 v31, s47, v31                                // 00000000A8A0: 0A3E3E2F
	v_cmp_u_f32_e64 s[78:79], v30, v30                         // 00000000A8A4: D048004E 00023D1E
	v_bfe_u32 v248, v30, 16, 1                                 // 00000000A8AC: D1C800F8 0205211E
	v_add3_u32 v248, v30, v248, v251                           // 00000000A8B4: D1FF00F8 07EFF11E
	v_cndmask_b32_e64 v28, v248, v250, s[78:79]                // 00000000A8BC: D100001C 013BF5F8
	v_lshrrev_b32_e32 v28, 16, v28                             // 00000000A8C4: 20383890
	v_cmp_u_f32_e64 s[78:79], v31, v31                         // 00000000A8C8: D048004E 00023F1F
	v_bfe_u32 v248, v31, 16, 1                                 // 00000000A8D0: D1C800F8 0205211F
	v_add3_u32 v248, v31, v248, v251                           // 00000000A8D8: D1FF00F8 07EFF11F
	v_cndmask_b32_e64 v29, v248, v250, s[78:79]                // 00000000A8E0: D100001D 013BF5F8
	v_and_or_b32 v84, v29, v249, v28                           // 00000000A8E8: D2010054 0473F31D
	v_accvgpr_read_b32 v30, a234                               // 00000000A8F0: D3D8401E 180001EA
	v_accvgpr_read_b32 v31, a235                               // 00000000A8F8: D3D8401F 180001EB
	v_mul_f32_e32 v30, s47, v30                                // 00000000A900: 0A3C3C2F
	v_mul_f32_e32 v31, s47, v31                                // 00000000A904: 0A3E3E2F
	v_cmp_u_f32_e64 s[78:79], v30, v30                         // 00000000A908: D048004E 00023D1E
	v_bfe_u32 v248, v30, 16, 1                                 // 00000000A910: D1C800F8 0205211E
	v_add3_u32 v248, v30, v248, v251                           // 00000000A918: D1FF00F8 07EFF11E
	v_cndmask_b32_e64 v28, v248, v250, s[78:79]                // 00000000A920: D100001C 013BF5F8
	v_lshrrev_b32_e32 v28, 16, v28                             // 00000000A928: 20383890
	v_cmp_u_f32_e64 s[78:79], v31, v31                         // 00000000A92C: D048004E 00023F1F
	v_bfe_u32 v248, v31, 16, 1                                 // 00000000A934: D1C800F8 0205211F
	v_add3_u32 v248, v31, v248, v251                           // 00000000A93C: D1FF00F8 07EFF11F
	v_cndmask_b32_e64 v29, v248, v250, s[78:79]                // 00000000A944: D100001D 013BF5F8
	v_and_or_b32 v85, v29, v249, v28                           // 00000000A94C: D2010055 0473F31D
	v_accvgpr_read_b32 v30, a236                               // 00000000A954: D3D8401E 180001EC
	v_accvgpr_read_b32 v31, a237                               // 00000000A95C: D3D8401F 180001ED
	v_mul_f32_e32 v30, s47, v30                                // 00000000A964: 0A3C3C2F
	v_mul_f32_e32 v31, s47, v31                                // 00000000A968: 0A3E3E2F
	v_cmp_u_f32_e64 s[78:79], v30, v30                         // 00000000A96C: D048004E 00023D1E
	v_bfe_u32 v248, v30, 16, 1                                 // 00000000A974: D1C800F8 0205211E
	v_add3_u32 v248, v30, v248, v251                           // 00000000A97C: D1FF00F8 07EFF11E
	v_cndmask_b32_e64 v28, v248, v250, s[78:79]                // 00000000A984: D100001C 013BF5F8
	v_lshrrev_b32_e32 v28, 16, v28                             // 00000000A98C: 20383890
	v_cmp_u_f32_e64 s[78:79], v31, v31                         // 00000000A990: D048004E 00023F1F
	v_bfe_u32 v248, v31, 16, 1                                 // 00000000A998: D1C800F8 0205211F
	v_add3_u32 v248, v31, v248, v251                           // 00000000A9A0: D1FF00F8 07EFF11F
	v_cndmask_b32_e64 v29, v248, v250, s[78:79]                // 00000000A9A8: D100001D 013BF5F8
	v_and_or_b32 v86, v29, v249, v28                           // 00000000A9B0: D2010056 0473F31D
	v_accvgpr_read_b32 v30, a238                               // 00000000A9B8: D3D8401E 180001EE
	v_accvgpr_read_b32 v31, a239                               // 00000000A9C0: D3D8401F 180001EF
	v_mul_f32_e32 v30, s47, v30                                // 00000000A9C8: 0A3C3C2F
	v_mul_f32_e32 v31, s47, v31                                // 00000000A9CC: 0A3E3E2F
	v_cmp_u_f32_e64 s[78:79], v30, v30                         // 00000000A9D0: D048004E 00023D1E
	v_bfe_u32 v248, v30, 16, 1                                 // 00000000A9D8: D1C800F8 0205211E
	v_add3_u32 v248, v30, v248, v251                           // 00000000A9E0: D1FF00F8 07EFF11E
	v_cndmask_b32_e64 v28, v248, v250, s[78:79]                // 00000000A9E8: D100001C 013BF5F8
	v_lshrrev_b32_e32 v28, 16, v28                             // 00000000A9F0: 20383890
	v_cmp_u_f32_e64 s[78:79], v31, v31                         // 00000000A9F4: D048004E 00023F1F
	v_bfe_u32 v248, v31, 16, 1                                 // 00000000A9FC: D1C800F8 0205211F
	v_add3_u32 v248, v31, v248, v251                           // 00000000AA04: D1FF00F8 07EFF11F
	v_cndmask_b32_e64 v29, v248, v250, s[78:79]                // 00000000AA0C: D100001D 013BF5F8
	v_and_or_b32 v87, v29, v249, v28                           // 00000000AA14: D2010057 0473F31D
	v_accvgpr_read_b32 v30, a240                               // 00000000AA1C: D3D8401E 180001F0
	v_accvgpr_read_b32 v31, a241                               // 00000000AA24: D3D8401F 180001F1
	v_mul_f32_e32 v30, s47, v30                                // 00000000AA2C: 0A3C3C2F
	v_mul_f32_e32 v31, s47, v31                                // 00000000AA30: 0A3E3E2F
	v_cmp_u_f32_e64 s[78:79], v30, v30                         // 00000000AA34: D048004E 00023D1E
	v_bfe_u32 v248, v30, 16, 1                                 // 00000000AA3C: D1C800F8 0205211E
	v_add3_u32 v248, v30, v248, v251                           // 00000000AA44: D1FF00F8 07EFF11E
	v_cndmask_b32_e64 v28, v248, v250, s[78:79]                // 00000000AA4C: D100001C 013BF5F8
	v_lshrrev_b32_e32 v28, 16, v28                             // 00000000AA54: 20383890
	v_cmp_u_f32_e64 s[78:79], v31, v31                         // 00000000AA58: D048004E 00023F1F
	v_bfe_u32 v248, v31, 16, 1                                 // 00000000AA60: D1C800F8 0205211F
	v_add3_u32 v248, v31, v248, v251                           // 00000000AA68: D1FF00F8 07EFF11F
	v_cndmask_b32_e64 v29, v248, v250, s[78:79]                // 00000000AA70: D100001D 013BF5F8
	v_and_or_b32 v88, v29, v249, v28                           // 00000000AA78: D2010058 0473F31D
	v_accvgpr_read_b32 v30, a242                               // 00000000AA80: D3D8401E 180001F2
	v_accvgpr_read_b32 v31, a243                               // 00000000AA88: D3D8401F 180001F3
	v_mul_f32_e32 v30, s47, v30                                // 00000000AA90: 0A3C3C2F
	v_mul_f32_e32 v31, s47, v31                                // 00000000AA94: 0A3E3E2F
	v_cmp_u_f32_e64 s[78:79], v30, v30                         // 00000000AA98: D048004E 00023D1E
	v_bfe_u32 v248, v30, 16, 1                                 // 00000000AAA0: D1C800F8 0205211E
	v_add3_u32 v248, v30, v248, v251                           // 00000000AAA8: D1FF00F8 07EFF11E
	v_cndmask_b32_e64 v28, v248, v250, s[78:79]                // 00000000AAB0: D100001C 013BF5F8
	v_lshrrev_b32_e32 v28, 16, v28                             // 00000000AAB8: 20383890
	v_cmp_u_f32_e64 s[78:79], v31, v31                         // 00000000AABC: D048004E 00023F1F
	v_bfe_u32 v248, v31, 16, 1                                 // 00000000AAC4: D1C800F8 0205211F
	v_add3_u32 v248, v31, v248, v251                           // 00000000AACC: D1FF00F8 07EFF11F
	v_cndmask_b32_e64 v29, v248, v250, s[78:79]                // 00000000AAD4: D100001D 013BF5F8
	v_and_or_b32 v89, v29, v249, v28                           // 00000000AADC: D2010059 0473F31D
	v_accvgpr_read_b32 v30, a244                               // 00000000AAE4: D3D8401E 180001F4
	v_accvgpr_read_b32 v31, a245                               // 00000000AAEC: D3D8401F 180001F5
	v_mul_f32_e32 v30, s47, v30                                // 00000000AAF4: 0A3C3C2F
	v_mul_f32_e32 v31, s47, v31                                // 00000000AAF8: 0A3E3E2F
	v_cmp_u_f32_e64 s[78:79], v30, v30                         // 00000000AAFC: D048004E 00023D1E
	v_bfe_u32 v248, v30, 16, 1                                 // 00000000AB04: D1C800F8 0205211E
	v_add3_u32 v248, v30, v248, v251                           // 00000000AB0C: D1FF00F8 07EFF11E
	v_cndmask_b32_e64 v28, v248, v250, s[78:79]                // 00000000AB14: D100001C 013BF5F8
	v_lshrrev_b32_e32 v28, 16, v28                             // 00000000AB1C: 20383890
	v_cmp_u_f32_e64 s[78:79], v31, v31                         // 00000000AB20: D048004E 00023F1F
	v_bfe_u32 v248, v31, 16, 1                                 // 00000000AB28: D1C800F8 0205211F
	v_add3_u32 v248, v31, v248, v251                           // 00000000AB30: D1FF00F8 07EFF11F
	v_cndmask_b32_e64 v29, v248, v250, s[78:79]                // 00000000AB38: D100001D 013BF5F8
	v_and_or_b32 v90, v29, v249, v28                           // 00000000AB40: D201005A 0473F31D
	v_accvgpr_read_b32 v30, a246                               // 00000000AB48: D3D8401E 180001F6
	v_accvgpr_read_b32 v31, a247                               // 00000000AB50: D3D8401F 180001F7
	v_mul_f32_e32 v30, s47, v30                                // 00000000AB58: 0A3C3C2F
	v_mul_f32_e32 v31, s47, v31                                // 00000000AB5C: 0A3E3E2F
	v_cmp_u_f32_e64 s[78:79], v30, v30                         // 00000000AB60: D048004E 00023D1E
	v_bfe_u32 v248, v30, 16, 1                                 // 00000000AB68: D1C800F8 0205211E
	v_add3_u32 v248, v30, v248, v251                           // 00000000AB70: D1FF00F8 07EFF11E
	v_cndmask_b32_e64 v28, v248, v250, s[78:79]                // 00000000AB78: D100001C 013BF5F8
	v_lshrrev_b32_e32 v28, 16, v28                             // 00000000AB80: 20383890
	v_cmp_u_f32_e64 s[78:79], v31, v31                         // 00000000AB84: D048004E 00023F1F
	v_bfe_u32 v248, v31, 16, 1                                 // 00000000AB8C: D1C800F8 0205211F
	v_add3_u32 v248, v31, v248, v251                           // 00000000AB94: D1FF00F8 07EFF11F
	v_cndmask_b32_e64 v29, v248, v250, s[78:79]                // 00000000AB9C: D100001D 013BF5F8
	v_and_or_b32 v91, v29, v249, v28                           // 00000000ABA4: D201005B 0473F31D
	v_accvgpr_read_b32 v30, a248                               // 00000000ABAC: D3D8401E 180001F8
	v_accvgpr_read_b32 v31, a249                               // 00000000ABB4: D3D8401F 180001F9
	v_mul_f32_e32 v30, s47, v30                                // 00000000ABBC: 0A3C3C2F
	v_mul_f32_e32 v31, s47, v31                                // 00000000ABC0: 0A3E3E2F
	v_cmp_u_f32_e64 s[78:79], v30, v30                         // 00000000ABC4: D048004E 00023D1E
	v_bfe_u32 v248, v30, 16, 1                                 // 00000000ABCC: D1C800F8 0205211E
	v_add3_u32 v248, v30, v248, v251                           // 00000000ABD4: D1FF00F8 07EFF11E
	v_cndmask_b32_e64 v28, v248, v250, s[78:79]                // 00000000ABDC: D100001C 013BF5F8
	v_lshrrev_b32_e32 v28, 16, v28                             // 00000000ABE4: 20383890
	v_cmp_u_f32_e64 s[78:79], v31, v31                         // 00000000ABE8: D048004E 00023F1F
	v_bfe_u32 v248, v31, 16, 1                                 // 00000000ABF0: D1C800F8 0205211F
	v_add3_u32 v248, v31, v248, v251                           // 00000000ABF8: D1FF00F8 07EFF11F
	v_cndmask_b32_e64 v29, v248, v250, s[78:79]                // 00000000AC00: D100001D 013BF5F8
	v_and_or_b32 v92, v29, v249, v28                           // 00000000AC08: D201005C 0473F31D
	v_accvgpr_read_b32 v30, a250                               // 00000000AC10: D3D8401E 180001FA
	v_accvgpr_read_b32 v31, a251                               // 00000000AC18: D3D8401F 180001FB
	v_mul_f32_e32 v30, s47, v30                                // 00000000AC20: 0A3C3C2F
	v_mul_f32_e32 v31, s47, v31                                // 00000000AC24: 0A3E3E2F
	v_cmp_u_f32_e64 s[78:79], v30, v30                         // 00000000AC28: D048004E 00023D1E
	v_bfe_u32 v248, v30, 16, 1                                 // 00000000AC30: D1C800F8 0205211E
	v_add3_u32 v248, v30, v248, v251                           // 00000000AC38: D1FF00F8 07EFF11E
	v_cndmask_b32_e64 v28, v248, v250, s[78:79]                // 00000000AC40: D100001C 013BF5F8
	v_lshrrev_b32_e32 v28, 16, v28                             // 00000000AC48: 20383890
	v_cmp_u_f32_e64 s[78:79], v31, v31                         // 00000000AC4C: D048004E 00023F1F
	v_bfe_u32 v248, v31, 16, 1                                 // 00000000AC54: D1C800F8 0205211F
	v_add3_u32 v248, v31, v248, v251                           // 00000000AC5C: D1FF00F8 07EFF11F
	v_cndmask_b32_e64 v29, v248, v250, s[78:79]                // 00000000AC64: D100001D 013BF5F8
	v_and_or_b32 v93, v29, v249, v28                           // 00000000AC6C: D201005D 0473F31D
	v_accvgpr_read_b32 v30, a252                               // 00000000AC74: D3D8401E 180001FC
	v_accvgpr_read_b32 v31, a253                               // 00000000AC7C: D3D8401F 180001FD
	v_mul_f32_e32 v30, s47, v30                                // 00000000AC84: 0A3C3C2F
	v_mul_f32_e32 v31, s47, v31                                // 00000000AC88: 0A3E3E2F
	v_cmp_u_f32_e64 s[78:79], v30, v30                         // 00000000AC8C: D048004E 00023D1E
	v_bfe_u32 v248, v30, 16, 1                                 // 00000000AC94: D1C800F8 0205211E
	v_add3_u32 v248, v30, v248, v251                           // 00000000AC9C: D1FF00F8 07EFF11E
	v_cndmask_b32_e64 v28, v248, v250, s[78:79]                // 00000000ACA4: D100001C 013BF5F8
	v_lshrrev_b32_e32 v28, 16, v28                             // 00000000ACAC: 20383890
	v_cmp_u_f32_e64 s[78:79], v31, v31                         // 00000000ACB0: D048004E 00023F1F
	v_bfe_u32 v248, v31, 16, 1                                 // 00000000ACB8: D1C800F8 0205211F
	v_add3_u32 v248, v31, v248, v251                           // 00000000ACC0: D1FF00F8 07EFF11F
	v_cndmask_b32_e64 v29, v248, v250, s[78:79]                // 00000000ACC8: D100001D 013BF5F8
	v_and_or_b32 v94, v29, v249, v28                           // 00000000ACD0: D201005E 0473F31D
	v_accvgpr_read_b32 v30, a254                               // 00000000ACD8: D3D8401E 180001FE
	v_accvgpr_read_b32 v31, a255                               // 00000000ACE0: D3D8401F 180001FF
	v_mul_f32_e32 v30, s47, v30                                // 00000000ACE8: 0A3C3C2F
	v_mul_f32_e32 v31, s47, v31                                // 00000000ACEC: 0A3E3E2F
	v_cmp_u_f32_e64 s[78:79], v30, v30                         // 00000000ACF0: D048004E 00023D1E
	v_bfe_u32 v248, v30, 16, 1                                 // 00000000ACF8: D1C800F8 0205211E
	v_add3_u32 v248, v30, v248, v251                           // 00000000AD00: D1FF00F8 07EFF11E
	v_cndmask_b32_e64 v28, v248, v250, s[78:79]                // 00000000AD08: D100001C 013BF5F8
	v_lshrrev_b32_e32 v28, 16, v28                             // 00000000AD10: 20383890
	v_cmp_u_f32_e64 s[78:79], v31, v31                         // 00000000AD14: D048004E 00023F1F
	v_bfe_u32 v248, v31, 16, 1                                 // 00000000AD1C: D1C800F8 0205211F
	v_add3_u32 v248, v31, v248, v251                           // 00000000AD24: D1FF00F8 07EFF11F
	v_cndmask_b32_e64 v29, v248, v250, s[78:79]                // 00000000AD2C: D100001D 013BF5F8
	v_and_or_b32 v95, v29, v249, v28                           // 00000000AD34: D201005F 0473F31D
	ds_write_b64 v25, v[80:81] offset:33792                    // 00000000AD3C: D89A8400 00005019
	ds_write_b64 v25, v[82:83] offset:34320                    // 00000000AD44: D89A8610 00005219
	ds_write_b64 v25, v[84:85] offset:34848                    // 00000000AD4C: D89A8820 00005419
	ds_write_b64 v25, v[86:87] offset:35376                    // 00000000AD54: D89A8A30 00005619
	ds_write_b64 v25, v[88:89] offset:35904                    // 00000000AD5C: D89A8C40 00005819
	ds_write_b64 v25, v[90:91] offset:36432                    // 00000000AD64: D89A8E50 00005A19
	ds_write_b64 v25, v[92:93] offset:36960                    // 00000000AD6C: D89A9060 00005C19
	ds_write_b64 v25, v[94:95] offset:37488                    // 00000000AD74: D89A9270 00005E19
	s_waitcnt lgkmcnt(0)                                       // 00000000AD7C: BF8CC07F
	s_barrier                                                  // 00000000AD80: BF8A0000
	ds_read_b64 v[80:81], v24 offset:33792                     // 00000000AD84: D8EC8400 50000018
	ds_read_b64 v[82:83], v24 offset:33920                     // 00000000AD8C: D8EC8480 52000018
	ds_read_b64 v[84:85], v24 offset:33824                     // 00000000AD94: D8EC8420 54000018
	ds_read_b64 v[86:87], v24 offset:33952                     // 00000000AD9C: D8EC84A0 56000018
	ds_read_b64 v[88:89], v24 offset:33856                     // 00000000ADA4: D8EC8440 58000018
	ds_read_b64 v[90:91], v24 offset:33984                     // 00000000ADAC: D8EC84C0 5A000018
	ds_read_b64 v[92:93], v24 offset:33888                     // 00000000ADB4: D8EC8460 5C000018
	ds_read_b64 v[94:95], v24 offset:34016                     // 00000000ADBC: D8EC84E0 5E000018
	s_waitcnt lgkmcnt(0)                                       // 00000000ADC4: BF8CC07F
	s_mov_b32 s70, s52                                         // 00000000ADC8: BEC60034
	s_mov_b64 exec, s[82:83]                                   // 00000000ADCC: BEFE0152
	buffer_store_dwordx4 v[80:83], v5, s[36:39], 0 idxen       // 00000000ADD0: E07C2000 80095005
	s_mov_b32 exec_lo, -1                                      // 00000000ADD8: BEFE00C1
	s_mov_b32 exec_hi, -1                                      // 00000000ADDC: BEFF00C1
	v_add_u32_e32 v5, s70, v5                                  // 00000000ADE0: 680A0A46
	s_mov_b64 exec, s[82:83]                                   // 00000000ADE4: BEFE0152
	buffer_store_dwordx4 v[84:87], v5, s[36:39], 0 idxen       // 00000000ADE8: E07C2000 80095405
	s_mov_b32 exec_lo, -1                                      // 00000000ADF0: BEFE00C1
	s_mov_b32 exec_hi, -1                                      // 00000000ADF4: BEFF00C1
	v_add_u32_e32 v5, s70, v5                                  // 00000000ADF8: 680A0A46
	s_mov_b64 exec, s[82:83]                                   // 00000000ADFC: BEFE0152
	buffer_store_dwordx4 v[88:91], v5, s[36:39], 0 idxen       // 00000000AE00: E07C2000 80095805
	s_mov_b32 exec_lo, -1                                      // 00000000AE08: BEFE00C1
	s_mov_b32 exec_hi, -1                                      // 00000000AE0C: BEFF00C1
	v_add_u32_e32 v5, s70, v5                                  // 00000000AE10: 680A0A46
	s_mov_b64 exec, s[82:83]                                   // 00000000AE14: BEFE0152
	buffer_store_dwordx4 v[92:95], v5, s[36:39], 0 idxen       // 00000000AE18: E07C2000 80095C05
	s_mov_b32 exec_lo, -1                                      // 00000000AE20: BEFE00C1
	s_mov_b32 exec_hi, -1                                      // 00000000AE24: BEFF00C1
	v_add_u32_e32 v5, s70, v5                                  // 00000000AE28: 680A0A46
	s_mul_i32 s60, 12, s70                                     // 00000000AE2C: 923C468C
	v_add_u32_e32 v5, s60, v5                                  // 00000000AE30: 680A0A3C
	s_barrier                                                  // 00000000AE34: BF8A0000
	s_cmp_ge_i32 3, s72                                        // 00000000AE38: BF034883
	s_cbranch_scc1 label_1C24                                  // 00000000AE3C: BF850000

000000000000ae40 <label_1C24>:
	v_mov_b32_e32 v30, v152                                    // 00000000AE40: 7E3C0398
	v_mov_b32_e32 v31, v153                                    // 00000000AE44: 7E3E0399
	v_cmp_u_f32_e64 s[78:79], v30, v30                         // 00000000AE48: D048004E 00023D1E
	v_bfe_u32 v248, v30, 16, 1                                 // 00000000AE50: D1C800F8 0205211E
	v_add3_u32 v248, v30, v248, v251                           // 00000000AE58: D1FF00F8 07EFF11E
	v_cndmask_b32_e64 v28, v248, v250, s[78:79]                // 00000000AE60: D100001C 013BF5F8
	v_lshrrev_b32_e32 v28, 16, v28                             // 00000000AE68: 20383890
	v_cmp_u_f32_e64 s[78:79], v31, v31                         // 00000000AE6C: D048004E 00023F1F
	v_bfe_u32 v248, v31, 16, 1                                 // 00000000AE74: D1C800F8 0205211F
	v_add3_u32 v248, v31, v248, v251                           // 00000000AE7C: D1FF00F8 07EFF11F
	v_cndmask_b32_e64 v29, v248, v250, s[78:79]                // 00000000AE84: D100001D 013BF5F8
	v_and_or_b32 v152, v29, v249, v28                          // 00000000AE8C: D2010098 0473F31D
	v_mov_b32_e32 v30, v154                                    // 00000000AE94: 7E3C039A
	v_mov_b32_e32 v31, v155                                    // 00000000AE98: 7E3E039B
	v_cmp_u_f32_e64 s[78:79], v30, v30                         // 00000000AE9C: D048004E 00023D1E
	v_bfe_u32 v248, v30, 16, 1                                 // 00000000AEA4: D1C800F8 0205211E
	v_add3_u32 v248, v30, v248, v251                           // 00000000AEAC: D1FF00F8 07EFF11E
	v_cndmask_b32_e64 v28, v248, v250, s[78:79]                // 00000000AEB4: D100001C 013BF5F8
	v_lshrrev_b32_e32 v28, 16, v28                             // 00000000AEBC: 20383890
	v_cmp_u_f32_e64 s[78:79], v31, v31                         // 00000000AEC0: D048004E 00023F1F
	v_bfe_u32 v248, v31, 16, 1                                 // 00000000AEC8: D1C800F8 0205211F
	v_add3_u32 v248, v31, v248, v251                           // 00000000AED0: D1FF00F8 07EFF11F
	v_cndmask_b32_e64 v29, v248, v250, s[78:79]                // 00000000AED8: D100001D 013BF5F8
	v_and_or_b32 v153, v29, v249, v28                          // 00000000AEE0: D2010099 0473F31D
	v_mov_b32_e32 v30, v156                                    // 00000000AEE8: 7E3C039C
	v_mov_b32_e32 v31, v157                                    // 00000000AEEC: 7E3E039D
	v_cmp_u_f32_e64 s[78:79], v30, v30                         // 00000000AEF0: D048004E 00023D1E
	v_bfe_u32 v248, v30, 16, 1                                 // 00000000AEF8: D1C800F8 0205211E
	v_add3_u32 v248, v30, v248, v251                           // 00000000AF00: D1FF00F8 07EFF11E
	v_cndmask_b32_e64 v28, v248, v250, s[78:79]                // 00000000AF08: D100001C 013BF5F8
	v_lshrrev_b32_e32 v28, 16, v28                             // 00000000AF10: 20383890
	v_cmp_u_f32_e64 s[78:79], v31, v31                         // 00000000AF14: D048004E 00023F1F
	v_bfe_u32 v248, v31, 16, 1                                 // 00000000AF1C: D1C800F8 0205211F
	v_add3_u32 v248, v31, v248, v251                           // 00000000AF24: D1FF00F8 07EFF11F
	v_cndmask_b32_e64 v29, v248, v250, s[78:79]                // 00000000AF2C: D100001D 013BF5F8
	v_and_or_b32 v154, v29, v249, v28                          // 00000000AF34: D201009A 0473F31D
	v_mov_b32_e32 v30, v158                                    // 00000000AF3C: 7E3C039E
	v_mov_b32_e32 v31, v159                                    // 00000000AF40: 7E3E039F
	v_cmp_u_f32_e64 s[78:79], v30, v30                         // 00000000AF44: D048004E 00023D1E
	v_bfe_u32 v248, v30, 16, 1                                 // 00000000AF4C: D1C800F8 0205211E
	v_add3_u32 v248, v30, v248, v251                           // 00000000AF54: D1FF00F8 07EFF11E
	v_cndmask_b32_e64 v28, v248, v250, s[78:79]                // 00000000AF5C: D100001C 013BF5F8
	v_lshrrev_b32_e32 v28, 16, v28                             // 00000000AF64: 20383890
	v_cmp_u_f32_e64 s[78:79], v31, v31                         // 00000000AF68: D048004E 00023F1F
	v_bfe_u32 v248, v31, 16, 1                                 // 00000000AF70: D1C800F8 0205211F
	v_add3_u32 v248, v31, v248, v251                           // 00000000AF78: D1FF00F8 07EFF11F
	v_cndmask_b32_e64 v29, v248, v250, s[78:79]                // 00000000AF80: D100001D 013BF5F8
	v_and_or_b32 v155, v29, v249, v28                          // 00000000AF88: D201009B 0473F31D
	v_mov_b32_e32 v30, v160                                    // 00000000AF90: 7E3C03A0
	v_mov_b32_e32 v31, v161                                    // 00000000AF94: 7E3E03A1
	v_cmp_u_f32_e64 s[78:79], v30, v30                         // 00000000AF98: D048004E 00023D1E
	v_bfe_u32 v248, v30, 16, 1                                 // 00000000AFA0: D1C800F8 0205211E
	v_add3_u32 v248, v30, v248, v251                           // 00000000AFA8: D1FF00F8 07EFF11E
	v_cndmask_b32_e64 v28, v248, v250, s[78:79]                // 00000000AFB0: D100001C 013BF5F8
	v_lshrrev_b32_e32 v28, 16, v28                             // 00000000AFB8: 20383890
	v_cmp_u_f32_e64 s[78:79], v31, v31                         // 00000000AFBC: D048004E 00023F1F
	v_bfe_u32 v248, v31, 16, 1                                 // 00000000AFC4: D1C800F8 0205211F
	v_add3_u32 v248, v31, v248, v251                           // 00000000AFCC: D1FF00F8 07EFF11F
	v_cndmask_b32_e64 v29, v248, v250, s[78:79]                // 00000000AFD4: D100001D 013BF5F8
	v_and_or_b32 v156, v29, v249, v28                          // 00000000AFDC: D201009C 0473F31D
	v_mov_b32_e32 v30, v162                                    // 00000000AFE4: 7E3C03A2
	v_mov_b32_e32 v31, v163                                    // 00000000AFE8: 7E3E03A3
	v_cmp_u_f32_e64 s[78:79], v30, v30                         // 00000000AFEC: D048004E 00023D1E
	v_bfe_u32 v248, v30, 16, 1                                 // 00000000AFF4: D1C800F8 0205211E
	v_add3_u32 v248, v30, v248, v251                           // 00000000AFFC: D1FF00F8 07EFF11E
	v_cndmask_b32_e64 v28, v248, v250, s[78:79]                // 00000000B004: D100001C 013BF5F8
	v_lshrrev_b32_e32 v28, 16, v28                             // 00000000B00C: 20383890
	v_cmp_u_f32_e64 s[78:79], v31, v31                         // 00000000B010: D048004E 00023F1F
	v_bfe_u32 v248, v31, 16, 1                                 // 00000000B018: D1C800F8 0205211F
	v_add3_u32 v248, v31, v248, v251                           // 00000000B020: D1FF00F8 07EFF11F
	v_cndmask_b32_e64 v29, v248, v250, s[78:79]                // 00000000B028: D100001D 013BF5F8
	v_and_or_b32 v157, v29, v249, v28                          // 00000000B030: D201009D 0473F31D
	v_mov_b32_e32 v30, v164                                    // 00000000B038: 7E3C03A4
	v_mov_b32_e32 v31, v165                                    // 00000000B03C: 7E3E03A5
	v_cmp_u_f32_e64 s[78:79], v30, v30                         // 00000000B040: D048004E 00023D1E
	v_bfe_u32 v248, v30, 16, 1                                 // 00000000B048: D1C800F8 0205211E
	v_add3_u32 v248, v30, v248, v251                           // 00000000B050: D1FF00F8 07EFF11E
	v_cndmask_b32_e64 v28, v248, v250, s[78:79]                // 00000000B058: D100001C 013BF5F8
	v_lshrrev_b32_e32 v28, 16, v28                             // 00000000B060: 20383890
	v_cmp_u_f32_e64 s[78:79], v31, v31                         // 00000000B064: D048004E 00023F1F
	v_bfe_u32 v248, v31, 16, 1                                 // 00000000B06C: D1C800F8 0205211F
	v_add3_u32 v248, v31, v248, v251                           // 00000000B074: D1FF00F8 07EFF11F
	v_cndmask_b32_e64 v29, v248, v250, s[78:79]                // 00000000B07C: D100001D 013BF5F8
	v_and_or_b32 v158, v29, v249, v28                          // 00000000B084: D201009E 0473F31D
	v_mov_b32_e32 v30, v166                                    // 00000000B08C: 7E3C03A6
	v_mov_b32_e32 v31, v167                                    // 00000000B090: 7E3E03A7
	v_cmp_u_f32_e64 s[78:79], v30, v30                         // 00000000B094: D048004E 00023D1E
	v_bfe_u32 v248, v30, 16, 1                                 // 00000000B09C: D1C800F8 0205211E
	v_add3_u32 v248, v30, v248, v251                           // 00000000B0A4: D1FF00F8 07EFF11E
	v_cndmask_b32_e64 v28, v248, v250, s[78:79]                // 00000000B0AC: D100001C 013BF5F8
	v_lshrrev_b32_e32 v28, 16, v28                             // 00000000B0B4: 20383890
	v_cmp_u_f32_e64 s[78:79], v31, v31                         // 00000000B0B8: D048004E 00023F1F
	v_bfe_u32 v248, v31, 16, 1                                 // 00000000B0C0: D1C800F8 0205211F
	v_add3_u32 v248, v31, v248, v251                           // 00000000B0C8: D1FF00F8 07EFF11F
	v_cndmask_b32_e64 v29, v248, v250, s[78:79]                // 00000000B0D0: D100001D 013BF5F8
	v_and_or_b32 v159, v29, v249, v28                          // 00000000B0D8: D201009F 0473F31D
	v_mov_b32_e32 v30, v168                                    // 00000000B0E0: 7E3C03A8
	v_mov_b32_e32 v31, v169                                    // 00000000B0E4: 7E3E03A9
	v_cmp_u_f32_e64 s[78:79], v30, v30                         // 00000000B0E8: D048004E 00023D1E
	v_bfe_u32 v248, v30, 16, 1                                 // 00000000B0F0: D1C800F8 0205211E
	v_add3_u32 v248, v30, v248, v251                           // 00000000B0F8: D1FF00F8 07EFF11E
	v_cndmask_b32_e64 v28, v248, v250, s[78:79]                // 00000000B100: D100001C 013BF5F8
	v_lshrrev_b32_e32 v28, 16, v28                             // 00000000B108: 20383890
	v_cmp_u_f32_e64 s[78:79], v31, v31                         // 00000000B10C: D048004E 00023F1F
	v_bfe_u32 v248, v31, 16, 1                                 // 00000000B114: D1C800F8 0205211F
	v_add3_u32 v248, v31, v248, v251                           // 00000000B11C: D1FF00F8 07EFF11F
	v_cndmask_b32_e64 v29, v248, v250, s[78:79]                // 00000000B124: D100001D 013BF5F8
	v_and_or_b32 v160, v29, v249, v28                          // 00000000B12C: D20100A0 0473F31D
	v_mov_b32_e32 v30, v170                                    // 00000000B134: 7E3C03AA
	v_mov_b32_e32 v31, v171                                    // 00000000B138: 7E3E03AB
	v_cmp_u_f32_e64 s[78:79], v30, v30                         // 00000000B13C: D048004E 00023D1E
	v_bfe_u32 v248, v30, 16, 1                                 // 00000000B144: D1C800F8 0205211E
	v_add3_u32 v248, v30, v248, v251                           // 00000000B14C: D1FF00F8 07EFF11E
	v_cndmask_b32_e64 v28, v248, v250, s[78:79]                // 00000000B154: D100001C 013BF5F8
	v_lshrrev_b32_e32 v28, 16, v28                             // 00000000B15C: 20383890
	v_cmp_u_f32_e64 s[78:79], v31, v31                         // 00000000B160: D048004E 00023F1F
	v_bfe_u32 v248, v31, 16, 1                                 // 00000000B168: D1C800F8 0205211F
	v_add3_u32 v248, v31, v248, v251                           // 00000000B170: D1FF00F8 07EFF11F
	v_cndmask_b32_e64 v29, v248, v250, s[78:79]                // 00000000B178: D100001D 013BF5F8
	v_and_or_b32 v161, v29, v249, v28                          // 00000000B180: D20100A1 0473F31D
	v_mov_b32_e32 v30, v172                                    // 00000000B188: 7E3C03AC
	v_mov_b32_e32 v31, v173                                    // 00000000B18C: 7E3E03AD
	v_cmp_u_f32_e64 s[78:79], v30, v30                         // 00000000B190: D048004E 00023D1E
	v_bfe_u32 v248, v30, 16, 1                                 // 00000000B198: D1C800F8 0205211E
	v_add3_u32 v248, v30, v248, v251                           // 00000000B1A0: D1FF00F8 07EFF11E
	v_cndmask_b32_e64 v28, v248, v250, s[78:79]                // 00000000B1A8: D100001C 013BF5F8
	v_lshrrev_b32_e32 v28, 16, v28                             // 00000000B1B0: 20383890
	v_cmp_u_f32_e64 s[78:79], v31, v31                         // 00000000B1B4: D048004E 00023F1F
	v_bfe_u32 v248, v31, 16, 1                                 // 00000000B1BC: D1C800F8 0205211F
	v_add3_u32 v248, v31, v248, v251                           // 00000000B1C4: D1FF00F8 07EFF11F
	v_cndmask_b32_e64 v29, v248, v250, s[78:79]                // 00000000B1CC: D100001D 013BF5F8
	v_and_or_b32 v162, v29, v249, v28                          // 00000000B1D4: D20100A2 0473F31D
	v_mov_b32_e32 v30, v174                                    // 00000000B1DC: 7E3C03AE
	v_mov_b32_e32 v31, v175                                    // 00000000B1E0: 7E3E03AF
	v_cmp_u_f32_e64 s[78:79], v30, v30                         // 00000000B1E4: D048004E 00023D1E
	v_bfe_u32 v248, v30, 16, 1                                 // 00000000B1EC: D1C800F8 0205211E
	v_add3_u32 v248, v30, v248, v251                           // 00000000B1F4: D1FF00F8 07EFF11E
	v_cndmask_b32_e64 v28, v248, v250, s[78:79]                // 00000000B1FC: D100001C 013BF5F8
	v_lshrrev_b32_e32 v28, 16, v28                             // 00000000B204: 20383890
	v_cmp_u_f32_e64 s[78:79], v31, v31                         // 00000000B208: D048004E 00023F1F
	v_bfe_u32 v248, v31, 16, 1                                 // 00000000B210: D1C800F8 0205211F
	v_add3_u32 v248, v31, v248, v251                           // 00000000B218: D1FF00F8 07EFF11F
	v_cndmask_b32_e64 v29, v248, v250, s[78:79]                // 00000000B220: D100001D 013BF5F8
	v_and_or_b32 v163, v29, v249, v28                          // 00000000B228: D20100A3 0473F31D
	v_mov_b32_e32 v30, v176                                    // 00000000B230: 7E3C03B0
	v_mov_b32_e32 v31, v177                                    // 00000000B234: 7E3E03B1
	v_cmp_u_f32_e64 s[78:79], v30, v30                         // 00000000B238: D048004E 00023D1E
	v_bfe_u32 v248, v30, 16, 1                                 // 00000000B240: D1C800F8 0205211E
	v_add3_u32 v248, v30, v248, v251                           // 00000000B248: D1FF00F8 07EFF11E
	v_cndmask_b32_e64 v28, v248, v250, s[78:79]                // 00000000B250: D100001C 013BF5F8
	v_lshrrev_b32_e32 v28, 16, v28                             // 00000000B258: 20383890
	v_cmp_u_f32_e64 s[78:79], v31, v31                         // 00000000B25C: D048004E 00023F1F
	v_bfe_u32 v248, v31, 16, 1                                 // 00000000B264: D1C800F8 0205211F
	v_add3_u32 v248, v31, v248, v251                           // 00000000B26C: D1FF00F8 07EFF11F
	v_cndmask_b32_e64 v29, v248, v250, s[78:79]                // 00000000B274: D100001D 013BF5F8
	v_and_or_b32 v164, v29, v249, v28                          // 00000000B27C: D20100A4 0473F31D
	v_mov_b32_e32 v30, v178                                    // 00000000B284: 7E3C03B2
	v_mov_b32_e32 v31, v179                                    // 00000000B288: 7E3E03B3
	v_cmp_u_f32_e64 s[78:79], v30, v30                         // 00000000B28C: D048004E 00023D1E
	v_bfe_u32 v248, v30, 16, 1                                 // 00000000B294: D1C800F8 0205211E
	v_add3_u32 v248, v30, v248, v251                           // 00000000B29C: D1FF00F8 07EFF11E
	v_cndmask_b32_e64 v28, v248, v250, s[78:79]                // 00000000B2A4: D100001C 013BF5F8
	v_lshrrev_b32_e32 v28, 16, v28                             // 00000000B2AC: 20383890
	v_cmp_u_f32_e64 s[78:79], v31, v31                         // 00000000B2B0: D048004E 00023F1F
	v_bfe_u32 v248, v31, 16, 1                                 // 00000000B2B8: D1C800F8 0205211F
	v_add3_u32 v248, v31, v248, v251                           // 00000000B2C0: D1FF00F8 07EFF11F
	v_cndmask_b32_e64 v29, v248, v250, s[78:79]                // 00000000B2C8: D100001D 013BF5F8
	v_and_or_b32 v165, v29, v249, v28                          // 00000000B2D0: D20100A5 0473F31D
	v_mov_b32_e32 v30, v180                                    // 00000000B2D8: 7E3C03B4
	v_mov_b32_e32 v31, v181                                    // 00000000B2DC: 7E3E03B5
	v_cmp_u_f32_e64 s[78:79], v30, v30                         // 00000000B2E0: D048004E 00023D1E
	v_bfe_u32 v248, v30, 16, 1                                 // 00000000B2E8: D1C800F8 0205211E
	v_add3_u32 v248, v30, v248, v251                           // 00000000B2F0: D1FF00F8 07EFF11E
	v_cndmask_b32_e64 v28, v248, v250, s[78:79]                // 00000000B2F8: D100001C 013BF5F8
	v_lshrrev_b32_e32 v28, 16, v28                             // 00000000B300: 20383890
	v_cmp_u_f32_e64 s[78:79], v31, v31                         // 00000000B304: D048004E 00023F1F
	v_bfe_u32 v248, v31, 16, 1                                 // 00000000B30C: D1C800F8 0205211F
	v_add3_u32 v248, v31, v248, v251                           // 00000000B314: D1FF00F8 07EFF11F
	v_cndmask_b32_e64 v29, v248, v250, s[78:79]                // 00000000B31C: D100001D 013BF5F8
	v_and_or_b32 v166, v29, v249, v28                          // 00000000B324: D20100A6 0473F31D
	v_mov_b32_e32 v30, v182                                    // 00000000B32C: 7E3C03B6
	v_mov_b32_e32 v31, v183                                    // 00000000B330: 7E3E03B7
	v_cmp_u_f32_e64 s[78:79], v30, v30                         // 00000000B334: D048004E 00023D1E
	v_bfe_u32 v248, v30, 16, 1                                 // 00000000B33C: D1C800F8 0205211E
	v_add3_u32 v248, v30, v248, v251                           // 00000000B344: D1FF00F8 07EFF11E
	v_cndmask_b32_e64 v28, v248, v250, s[78:79]                // 00000000B34C: D100001C 013BF5F8
	v_lshrrev_b32_e32 v28, 16, v28                             // 00000000B354: 20383890
	v_cmp_u_f32_e64 s[78:79], v31, v31                         // 00000000B358: D048004E 00023F1F
	v_bfe_u32 v248, v31, 16, 1                                 // 00000000B360: D1C800F8 0205211F
	v_add3_u32 v248, v31, v248, v251                           // 00000000B368: D1FF00F8 07EFF11F
	v_cndmask_b32_e64 v29, v248, v250, s[78:79]                // 00000000B370: D100001D 013BF5F8
	v_and_or_b32 v167, v29, v249, v28                          // 00000000B378: D20100A7 0473F31D
	ds_write_b64 v25, v[152:153]                               // 00000000B380: D89A0000 00009819
	ds_write_b64 v25, v[154:155] offset:528                    // 00000000B388: D89A0210 00009A19
	ds_write_b64 v25, v[156:157] offset:1056                   // 00000000B390: D89A0420 00009C19
	ds_write_b64 v25, v[158:159] offset:1584                   // 00000000B398: D89A0630 00009E19
	ds_write_b64 v25, v[160:161] offset:2112                   // 00000000B3A0: D89A0840 0000A019
	ds_write_b64 v25, v[162:163] offset:2640                   // 00000000B3A8: D89A0A50 0000A219
	ds_write_b64 v25, v[164:165] offset:3168                   // 00000000B3B0: D89A0C60 0000A419
	ds_write_b64 v25, v[166:167] offset:3696                   // 00000000B3B8: D89A0E70 0000A619
	s_waitcnt lgkmcnt(0)                                       // 00000000B3C0: BF8CC07F
	s_barrier                                                  // 00000000B3C4: BF8A0000
	ds_read_b64 v[152:153], v24                                // 00000000B3C8: D8EC0000 98000018
	ds_read_b64 v[154:155], v24 offset:128                     // 00000000B3D0: D8EC0080 9A000018
	ds_read_b64 v[156:157], v24 offset:32                      // 00000000B3D8: D8EC0020 9C000018
	ds_read_b64 v[158:159], v24 offset:160                     // 00000000B3E0: D8EC00A0 9E000018
	ds_read_b64 v[160:161], v24 offset:64                      // 00000000B3E8: D8EC0040 A0000018
	ds_read_b64 v[162:163], v24 offset:192                     // 00000000B3F0: D8EC00C0 A2000018
	ds_read_b64 v[164:165], v24 offset:96                      // 00000000B3F8: D8EC0060 A4000018
	ds_read_b64 v[166:167], v24 offset:224                     // 00000000B400: D8EC00E0 A6000018
	s_waitcnt lgkmcnt(0)                                       // 00000000B408: BF8CC07F
	s_mov_b32 s70, s53                                         // 00000000B40C: BEC60035
	s_mov_b64 exec, s[82:83]                                   // 00000000B410: BEFE0152
	buffer_store_dwordx4 v[152:155], v6, s[40:43], 0 idxen     // 00000000B414: E07C2000 800A9806
	s_mov_b32 exec_lo, -1                                      // 00000000B41C: BEFE00C1
	s_mov_b32 exec_hi, -1                                      // 00000000B420: BEFF00C1
	v_add_u32_e32 v6, s70, v6                                  // 00000000B424: 680C0C46
	s_mov_b64 exec, s[82:83]                                   // 00000000B428: BEFE0152
	buffer_store_dwordx4 v[156:159], v6, s[40:43], 0 idxen     // 00000000B42C: E07C2000 800A9C06
	s_mov_b32 exec_lo, -1                                      // 00000000B434: BEFE00C1
	s_mov_b32 exec_hi, -1                                      // 00000000B438: BEFF00C1
	v_add_u32_e32 v6, s70, v6                                  // 00000000B43C: 680C0C46
	s_mov_b64 exec, s[82:83]                                   // 00000000B440: BEFE0152
	buffer_store_dwordx4 v[160:163], v6, s[40:43], 0 idxen     // 00000000B444: E07C2000 800AA006
	s_mov_b32 exec_lo, -1                                      // 00000000B44C: BEFE00C1
	s_mov_b32 exec_hi, -1                                      // 00000000B450: BEFF00C1
	v_add_u32_e32 v6, s70, v6                                  // 00000000B454: 680C0C46
	s_mov_b64 exec, s[82:83]                                   // 00000000B458: BEFE0152
	buffer_store_dwordx4 v[164:167], v6, s[40:43], 0 idxen     // 00000000B45C: E07C2000 800AA406
	s_mov_b32 exec_lo, -1                                      // 00000000B464: BEFE00C1
	s_mov_b32 exec_hi, -1                                      // 00000000B468: BEFF00C1
	v_add_u32_e32 v6, s70, v6                                  // 00000000B46C: 680C0C46
	s_mul_i32 s60, 12, s70                                     // 00000000B470: 923C468C
	v_add_u32_e32 v6, s60, v6                                  // 00000000B474: 680C0C3C
	s_cmp_ge_i32 1, s72                                        // 00000000B478: BF034881
	s_cbranch_scc1 label_20D4                                  // 00000000B47C: BF850320
	v_mov_b32_e32 v30, v184                                    // 00000000B480: 7E3C03B8
	v_mov_b32_e32 v31, v185                                    // 00000000B484: 7E3E03B9
	v_cmp_u_f32_e64 s[78:79], v30, v30                         // 00000000B488: D048004E 00023D1E
	v_bfe_u32 v248, v30, 16, 1                                 // 00000000B490: D1C800F8 0205211E
	v_add3_u32 v248, v30, v248, v251                           // 00000000B498: D1FF00F8 07EFF11E
	v_cndmask_b32_e64 v28, v248, v250, s[78:79]                // 00000000B4A0: D100001C 013BF5F8
	v_lshrrev_b32_e32 v28, 16, v28                             // 00000000B4A8: 20383890
	v_cmp_u_f32_e64 s[78:79], v31, v31                         // 00000000B4AC: D048004E 00023F1F
	v_bfe_u32 v248, v31, 16, 1                                 // 00000000B4B4: D1C800F8 0205211F
	v_add3_u32 v248, v31, v248, v251                           // 00000000B4BC: D1FF00F8 07EFF11F
	v_cndmask_b32_e64 v29, v248, v250, s[78:79]                // 00000000B4C4: D100001D 013BF5F8
	v_and_or_b32 v168, v29, v249, v28                          // 00000000B4CC: D20100A8 0473F31D
	v_mov_b32_e32 v30, v186                                    // 00000000B4D4: 7E3C03BA
	v_mov_b32_e32 v31, v187                                    // 00000000B4D8: 7E3E03BB
	v_cmp_u_f32_e64 s[78:79], v30, v30                         // 00000000B4DC: D048004E 00023D1E
	v_bfe_u32 v248, v30, 16, 1                                 // 00000000B4E4: D1C800F8 0205211E
	v_add3_u32 v248, v30, v248, v251                           // 00000000B4EC: D1FF00F8 07EFF11E
	v_cndmask_b32_e64 v28, v248, v250, s[78:79]                // 00000000B4F4: D100001C 013BF5F8
	v_lshrrev_b32_e32 v28, 16, v28                             // 00000000B4FC: 20383890
	v_cmp_u_f32_e64 s[78:79], v31, v31                         // 00000000B500: D048004E 00023F1F
	v_bfe_u32 v248, v31, 16, 1                                 // 00000000B508: D1C800F8 0205211F
	v_add3_u32 v248, v31, v248, v251                           // 00000000B510: D1FF00F8 07EFF11F
	v_cndmask_b32_e64 v29, v248, v250, s[78:79]                // 00000000B518: D100001D 013BF5F8
	v_and_or_b32 v169, v29, v249, v28                          // 00000000B520: D20100A9 0473F31D
	v_mov_b32_e32 v30, v188                                    // 00000000B528: 7E3C03BC
	v_mov_b32_e32 v31, v189                                    // 00000000B52C: 7E3E03BD
	v_cmp_u_f32_e64 s[78:79], v30, v30                         // 00000000B530: D048004E 00023D1E
	v_bfe_u32 v248, v30, 16, 1                                 // 00000000B538: D1C800F8 0205211E
	v_add3_u32 v248, v30, v248, v251                           // 00000000B540: D1FF00F8 07EFF11E
	v_cndmask_b32_e64 v28, v248, v250, s[78:79]                // 00000000B548: D100001C 013BF5F8
	v_lshrrev_b32_e32 v28, 16, v28                             // 00000000B550: 20383890
	v_cmp_u_f32_e64 s[78:79], v31, v31                         // 00000000B554: D048004E 00023F1F
	v_bfe_u32 v248, v31, 16, 1                                 // 00000000B55C: D1C800F8 0205211F
	v_add3_u32 v248, v31, v248, v251                           // 00000000B564: D1FF00F8 07EFF11F
	v_cndmask_b32_e64 v29, v248, v250, s[78:79]                // 00000000B56C: D100001D 013BF5F8
	v_and_or_b32 v170, v29, v249, v28                          // 00000000B574: D20100AA 0473F31D
	v_mov_b32_e32 v30, v190                                    // 00000000B57C: 7E3C03BE
	v_mov_b32_e32 v31, v191                                    // 00000000B580: 7E3E03BF
	v_cmp_u_f32_e64 s[78:79], v30, v30                         // 00000000B584: D048004E 00023D1E
	v_bfe_u32 v248, v30, 16, 1                                 // 00000000B58C: D1C800F8 0205211E
	v_add3_u32 v248, v30, v248, v251                           // 00000000B594: D1FF00F8 07EFF11E
	v_cndmask_b32_e64 v28, v248, v250, s[78:79]                // 00000000B59C: D100001C 013BF5F8
	v_lshrrev_b32_e32 v28, 16, v28                             // 00000000B5A4: 20383890
	v_cmp_u_f32_e64 s[78:79], v31, v31                         // 00000000B5A8: D048004E 00023F1F
	v_bfe_u32 v248, v31, 16, 1                                 // 00000000B5B0: D1C800F8 0205211F
	v_add3_u32 v248, v31, v248, v251                           // 00000000B5B8: D1FF00F8 07EFF11F
	v_cndmask_b32_e64 v29, v248, v250, s[78:79]                // 00000000B5C0: D100001D 013BF5F8
	v_and_or_b32 v171, v29, v249, v28                          // 00000000B5C8: D20100AB 0473F31D
	v_mov_b32_e32 v30, v192                                    // 00000000B5D0: 7E3C03C0
	v_mov_b32_e32 v31, v193                                    // 00000000B5D4: 7E3E03C1
	v_cmp_u_f32_e64 s[78:79], v30, v30                         // 00000000B5D8: D048004E 00023D1E
	v_bfe_u32 v248, v30, 16, 1                                 // 00000000B5E0: D1C800F8 0205211E
	v_add3_u32 v248, v30, v248, v251                           // 00000000B5E8: D1FF00F8 07EFF11E
	v_cndmask_b32_e64 v28, v248, v250, s[78:79]                // 00000000B5F0: D100001C 013BF5F8
	v_lshrrev_b32_e32 v28, 16, v28                             // 00000000B5F8: 20383890
	v_cmp_u_f32_e64 s[78:79], v31, v31                         // 00000000B5FC: D048004E 00023F1F
	v_bfe_u32 v248, v31, 16, 1                                 // 00000000B604: D1C800F8 0205211F
	v_add3_u32 v248, v31, v248, v251                           // 00000000B60C: D1FF00F8 07EFF11F
	v_cndmask_b32_e64 v29, v248, v250, s[78:79]                // 00000000B614: D100001D 013BF5F8
	v_and_or_b32 v172, v29, v249, v28                          // 00000000B61C: D20100AC 0473F31D
	v_mov_b32_e32 v30, v194                                    // 00000000B624: 7E3C03C2
	v_mov_b32_e32 v31, v195                                    // 00000000B628: 7E3E03C3
	v_cmp_u_f32_e64 s[78:79], v30, v30                         // 00000000B62C: D048004E 00023D1E
	v_bfe_u32 v248, v30, 16, 1                                 // 00000000B634: D1C800F8 0205211E
	v_add3_u32 v248, v30, v248, v251                           // 00000000B63C: D1FF00F8 07EFF11E
	v_cndmask_b32_e64 v28, v248, v250, s[78:79]                // 00000000B644: D100001C 013BF5F8
	v_lshrrev_b32_e32 v28, 16, v28                             // 00000000B64C: 20383890
	v_cmp_u_f32_e64 s[78:79], v31, v31                         // 00000000B650: D048004E 00023F1F
	v_bfe_u32 v248, v31, 16, 1                                 // 00000000B658: D1C800F8 0205211F
	v_add3_u32 v248, v31, v248, v251                           // 00000000B660: D1FF00F8 07EFF11F
	v_cndmask_b32_e64 v29, v248, v250, s[78:79]                // 00000000B668: D100001D 013BF5F8
	v_and_or_b32 v173, v29, v249, v28                          // 00000000B670: D20100AD 0473F31D
	v_mov_b32_e32 v30, v196                                    // 00000000B678: 7E3C03C4
	v_mov_b32_e32 v31, v197                                    // 00000000B67C: 7E3E03C5
	v_cmp_u_f32_e64 s[78:79], v30, v30                         // 00000000B680: D048004E 00023D1E
	v_bfe_u32 v248, v30, 16, 1                                 // 00000000B688: D1C800F8 0205211E
	v_add3_u32 v248, v30, v248, v251                           // 00000000B690: D1FF00F8 07EFF11E
	v_cndmask_b32_e64 v28, v248, v250, s[78:79]                // 00000000B698: D100001C 013BF5F8
	v_lshrrev_b32_e32 v28, 16, v28                             // 00000000B6A0: 20383890
	v_cmp_u_f32_e64 s[78:79], v31, v31                         // 00000000B6A4: D048004E 00023F1F
	v_bfe_u32 v248, v31, 16, 1                                 // 00000000B6AC: D1C800F8 0205211F
	v_add3_u32 v248, v31, v248, v251                           // 00000000B6B4: D1FF00F8 07EFF11F
	v_cndmask_b32_e64 v29, v248, v250, s[78:79]                // 00000000B6BC: D100001D 013BF5F8
	v_and_or_b32 v174, v29, v249, v28                          // 00000000B6C4: D20100AE 0473F31D
	v_mov_b32_e32 v30, v198                                    // 00000000B6CC: 7E3C03C6
	v_mov_b32_e32 v31, v199                                    // 00000000B6D0: 7E3E03C7
	v_cmp_u_f32_e64 s[78:79], v30, v30                         // 00000000B6D4: D048004E 00023D1E
	v_bfe_u32 v248, v30, 16, 1                                 // 00000000B6DC: D1C800F8 0205211E
	v_add3_u32 v248, v30, v248, v251                           // 00000000B6E4: D1FF00F8 07EFF11E
	v_cndmask_b32_e64 v28, v248, v250, s[78:79]                // 00000000B6EC: D100001C 013BF5F8
	v_lshrrev_b32_e32 v28, 16, v28                             // 00000000B6F4: 20383890
	v_cmp_u_f32_e64 s[78:79], v31, v31                         // 00000000B6F8: D048004E 00023F1F
	v_bfe_u32 v248, v31, 16, 1                                 // 00000000B700: D1C800F8 0205211F
	v_add3_u32 v248, v31, v248, v251                           // 00000000B708: D1FF00F8 07EFF11F
	v_cndmask_b32_e64 v29, v248, v250, s[78:79]                // 00000000B710: D100001D 013BF5F8
	v_and_or_b32 v175, v29, v249, v28                          // 00000000B718: D20100AF 0473F31D
	v_mov_b32_e32 v30, v200                                    // 00000000B720: 7E3C03C8
	v_mov_b32_e32 v31, v201                                    // 00000000B724: 7E3E03C9
	v_cmp_u_f32_e64 s[78:79], v30, v30                         // 00000000B728: D048004E 00023D1E
	v_bfe_u32 v248, v30, 16, 1                                 // 00000000B730: D1C800F8 0205211E
	v_add3_u32 v248, v30, v248, v251                           // 00000000B738: D1FF00F8 07EFF11E
	v_cndmask_b32_e64 v28, v248, v250, s[78:79]                // 00000000B740: D100001C 013BF5F8
	v_lshrrev_b32_e32 v28, 16, v28                             // 00000000B748: 20383890
	v_cmp_u_f32_e64 s[78:79], v31, v31                         // 00000000B74C: D048004E 00023F1F
	v_bfe_u32 v248, v31, 16, 1                                 // 00000000B754: D1C800F8 0205211F
	v_add3_u32 v248, v31, v248, v251                           // 00000000B75C: D1FF00F8 07EFF11F
	v_cndmask_b32_e64 v29, v248, v250, s[78:79]                // 00000000B764: D100001D 013BF5F8
	v_and_or_b32 v176, v29, v249, v28                          // 00000000B76C: D20100B0 0473F31D
	v_mov_b32_e32 v30, v202                                    // 00000000B774: 7E3C03CA
	v_mov_b32_e32 v31, v203                                    // 00000000B778: 7E3E03CB
	v_cmp_u_f32_e64 s[78:79], v30, v30                         // 00000000B77C: D048004E 00023D1E
	v_bfe_u32 v248, v30, 16, 1                                 // 00000000B784: D1C800F8 0205211E
	v_add3_u32 v248, v30, v248, v251                           // 00000000B78C: D1FF00F8 07EFF11E
	v_cndmask_b32_e64 v28, v248, v250, s[78:79]                // 00000000B794: D100001C 013BF5F8
	v_lshrrev_b32_e32 v28, 16, v28                             // 00000000B79C: 20383890
	v_cmp_u_f32_e64 s[78:79], v31, v31                         // 00000000B7A0: D048004E 00023F1F
	v_bfe_u32 v248, v31, 16, 1                                 // 00000000B7A8: D1C800F8 0205211F
	v_add3_u32 v248, v31, v248, v251                           // 00000000B7B0: D1FF00F8 07EFF11F
	v_cndmask_b32_e64 v29, v248, v250, s[78:79]                // 00000000B7B8: D100001D 013BF5F8
	v_and_or_b32 v177, v29, v249, v28                          // 00000000B7C0: D20100B1 0473F31D
	v_mov_b32_e32 v30, v204                                    // 00000000B7C8: 7E3C03CC
	v_mov_b32_e32 v31, v205                                    // 00000000B7CC: 7E3E03CD
	v_cmp_u_f32_e64 s[78:79], v30, v30                         // 00000000B7D0: D048004E 00023D1E
	v_bfe_u32 v248, v30, 16, 1                                 // 00000000B7D8: D1C800F8 0205211E
	v_add3_u32 v248, v30, v248, v251                           // 00000000B7E0: D1FF00F8 07EFF11E
	v_cndmask_b32_e64 v28, v248, v250, s[78:79]                // 00000000B7E8: D100001C 013BF5F8
	v_lshrrev_b32_e32 v28, 16, v28                             // 00000000B7F0: 20383890
	v_cmp_u_f32_e64 s[78:79], v31, v31                         // 00000000B7F4: D048004E 00023F1F
	v_bfe_u32 v248, v31, 16, 1                                 // 00000000B7FC: D1C800F8 0205211F
	v_add3_u32 v248, v31, v248, v251                           // 00000000B804: D1FF00F8 07EFF11F
	v_cndmask_b32_e64 v29, v248, v250, s[78:79]                // 00000000B80C: D100001D 013BF5F8
	v_and_or_b32 v178, v29, v249, v28                          // 00000000B814: D20100B2 0473F31D
	v_mov_b32_e32 v30, v206                                    // 00000000B81C: 7E3C03CE
	v_mov_b32_e32 v31, v207                                    // 00000000B820: 7E3E03CF
	v_cmp_u_f32_e64 s[78:79], v30, v30                         // 00000000B824: D048004E 00023D1E
	v_bfe_u32 v248, v30, 16, 1                                 // 00000000B82C: D1C800F8 0205211E
	v_add3_u32 v248, v30, v248, v251                           // 00000000B834: D1FF00F8 07EFF11E
	v_cndmask_b32_e64 v28, v248, v250, s[78:79]                // 00000000B83C: D100001C 013BF5F8
	v_lshrrev_b32_e32 v28, 16, v28                             // 00000000B844: 20383890
	v_cmp_u_f32_e64 s[78:79], v31, v31                         // 00000000B848: D048004E 00023F1F
	v_bfe_u32 v248, v31, 16, 1                                 // 00000000B850: D1C800F8 0205211F
	v_add3_u32 v248, v31, v248, v251                           // 00000000B858: D1FF00F8 07EFF11F
	v_cndmask_b32_e64 v29, v248, v250, s[78:79]                // 00000000B860: D100001D 013BF5F8
	v_and_or_b32 v179, v29, v249, v28                          // 00000000B868: D20100B3 0473F31D
	v_mov_b32_e32 v30, v208                                    // 00000000B870: 7E3C03D0
	v_mov_b32_e32 v31, v209                                    // 00000000B874: 7E3E03D1
	v_cmp_u_f32_e64 s[78:79], v30, v30                         // 00000000B878: D048004E 00023D1E
	v_bfe_u32 v248, v30, 16, 1                                 // 00000000B880: D1C800F8 0205211E
	v_add3_u32 v248, v30, v248, v251                           // 00000000B888: D1FF00F8 07EFF11E
	v_cndmask_b32_e64 v28, v248, v250, s[78:79]                // 00000000B890: D100001C 013BF5F8
	v_lshrrev_b32_e32 v28, 16, v28                             // 00000000B898: 20383890
	v_cmp_u_f32_e64 s[78:79], v31, v31                         // 00000000B89C: D048004E 00023F1F
	v_bfe_u32 v248, v31, 16, 1                                 // 00000000B8A4: D1C800F8 0205211F
	v_add3_u32 v248, v31, v248, v251                           // 00000000B8AC: D1FF00F8 07EFF11F
	v_cndmask_b32_e64 v29, v248, v250, s[78:79]                // 00000000B8B4: D100001D 013BF5F8
	v_and_or_b32 v180, v29, v249, v28                          // 00000000B8BC: D20100B4 0473F31D
	v_mov_b32_e32 v30, v210                                    // 00000000B8C4: 7E3C03D2
	v_mov_b32_e32 v31, v211                                    // 00000000B8C8: 7E3E03D3
	v_cmp_u_f32_e64 s[78:79], v30, v30                         // 00000000B8CC: D048004E 00023D1E
	v_bfe_u32 v248, v30, 16, 1                                 // 00000000B8D4: D1C800F8 0205211E
	v_add3_u32 v248, v30, v248, v251                           // 00000000B8DC: D1FF00F8 07EFF11E
	v_cndmask_b32_e64 v28, v248, v250, s[78:79]                // 00000000B8E4: D100001C 013BF5F8
	v_lshrrev_b32_e32 v28, 16, v28                             // 00000000B8EC: 20383890
	v_cmp_u_f32_e64 s[78:79], v31, v31                         // 00000000B8F0: D048004E 00023F1F
	v_bfe_u32 v248, v31, 16, 1                                 // 00000000B8F8: D1C800F8 0205211F
	v_add3_u32 v248, v31, v248, v251                           // 00000000B900: D1FF00F8 07EFF11F
	v_cndmask_b32_e64 v29, v248, v250, s[78:79]                // 00000000B908: D100001D 013BF5F8
	v_and_or_b32 v181, v29, v249, v28                          // 00000000B910: D20100B5 0473F31D
	v_mov_b32_e32 v30, v212                                    // 00000000B918: 7E3C03D4
	v_mov_b32_e32 v31, v213                                    // 00000000B91C: 7E3E03D5
	v_cmp_u_f32_e64 s[78:79], v30, v30                         // 00000000B920: D048004E 00023D1E
	v_bfe_u32 v248, v30, 16, 1                                 // 00000000B928: D1C800F8 0205211E
	v_add3_u32 v248, v30, v248, v251                           // 00000000B930: D1FF00F8 07EFF11E
	v_cndmask_b32_e64 v28, v248, v250, s[78:79]                // 00000000B938: D100001C 013BF5F8
	v_lshrrev_b32_e32 v28, 16, v28                             // 00000000B940: 20383890
	v_cmp_u_f32_e64 s[78:79], v31, v31                         // 00000000B944: D048004E 00023F1F
	v_bfe_u32 v248, v31, 16, 1                                 // 00000000B94C: D1C800F8 0205211F
	v_add3_u32 v248, v31, v248, v251                           // 00000000B954: D1FF00F8 07EFF11F
	v_cndmask_b32_e64 v29, v248, v250, s[78:79]                // 00000000B95C: D100001D 013BF5F8
	v_and_or_b32 v182, v29, v249, v28                          // 00000000B964: D20100B6 0473F31D
	v_mov_b32_e32 v30, v214                                    // 00000000B96C: 7E3C03D6
	v_mov_b32_e32 v31, v215                                    // 00000000B970: 7E3E03D7
	v_cmp_u_f32_e64 s[78:79], v30, v30                         // 00000000B974: D048004E 00023D1E
	v_bfe_u32 v248, v30, 16, 1                                 // 00000000B97C: D1C800F8 0205211E
	v_add3_u32 v248, v30, v248, v251                           // 00000000B984: D1FF00F8 07EFF11E
	v_cndmask_b32_e64 v28, v248, v250, s[78:79]                // 00000000B98C: D100001C 013BF5F8
	v_lshrrev_b32_e32 v28, 16, v28                             // 00000000B994: 20383890
	v_cmp_u_f32_e64 s[78:79], v31, v31                         // 00000000B998: D048004E 00023F1F
	v_bfe_u32 v248, v31, 16, 1                                 // 00000000B9A0: D1C800F8 0205211F
	v_add3_u32 v248, v31, v248, v251                           // 00000000B9A8: D1FF00F8 07EFF11F
	v_cndmask_b32_e64 v29, v248, v250, s[78:79]                // 00000000B9B0: D100001D 013BF5F8
	v_and_or_b32 v183, v29, v249, v28                          // 00000000B9B8: D20100B7 0473F31D
	ds_write_b64 v25, v[168:169] offset:16896                  // 00000000B9C0: D89A4200 0000A819
	ds_write_b64 v25, v[170:171] offset:17424                  // 00000000B9C8: D89A4410 0000AA19
	ds_write_b64 v25, v[172:173] offset:17952                  // 00000000B9D0: D89A4620 0000AC19
	ds_write_b64 v25, v[174:175] offset:18480                  // 00000000B9D8: D89A4830 0000AE19
	ds_write_b64 v25, v[176:177] offset:19008                  // 00000000B9E0: D89A4A40 0000B019
	ds_write_b64 v25, v[178:179] offset:19536                  // 00000000B9E8: D89A4C50 0000B219
	ds_write_b64 v25, v[180:181] offset:20064                  // 00000000B9F0: D89A4E60 0000B419
	ds_write_b64 v25, v[182:183] offset:20592                  // 00000000B9F8: D89A5070 0000B619
	s_waitcnt lgkmcnt(0)                                       // 00000000BA00: BF8CC07F
	s_barrier                                                  // 00000000BA04: BF8A0000
	ds_read_b64 v[168:169], v24 offset:16896                   // 00000000BA08: D8EC4200 A8000018
	ds_read_b64 v[170:171], v24 offset:17024                   // 00000000BA10: D8EC4280 AA000018
	ds_read_b64 v[172:173], v24 offset:16928                   // 00000000BA18: D8EC4220 AC000018
	ds_read_b64 v[174:175], v24 offset:17056                   // 00000000BA20: D8EC42A0 AE000018
	ds_read_b64 v[176:177], v24 offset:16960                   // 00000000BA28: D8EC4240 B0000018
	ds_read_b64 v[178:179], v24 offset:17088                   // 00000000BA30: D8EC42C0 B2000018
	ds_read_b64 v[180:181], v24 offset:16992                   // 00000000BA38: D8EC4260 B4000018
	ds_read_b64 v[182:183], v24 offset:17120                   // 00000000BA40: D8EC42E0 B6000018
	s_waitcnt lgkmcnt(0)                                       // 00000000BA48: BF8CC07F
	s_mov_b32 s70, s53                                         // 00000000BA4C: BEC60035
	s_mov_b64 exec, s[82:83]                                   // 00000000BA50: BEFE0152
	buffer_store_dwordx4 v[168:171], v6, s[40:43], 0 idxen     // 00000000BA54: E07C2000 800AA806
	s_mov_b32 exec_lo, -1                                      // 00000000BA5C: BEFE00C1
	s_mov_b32 exec_hi, -1                                      // 00000000BA60: BEFF00C1
	v_add_u32_e32 v6, s70, v6                                  // 00000000BA64: 680C0C46
	s_mov_b64 exec, s[82:83]                                   // 00000000BA68: BEFE0152
	buffer_store_dwordx4 v[172:175], v6, s[40:43], 0 idxen     // 00000000BA6C: E07C2000 800AAC06
	s_mov_b32 exec_lo, -1                                      // 00000000BA74: BEFE00C1
	s_mov_b32 exec_hi, -1                                      // 00000000BA78: BEFF00C1
	v_add_u32_e32 v6, s70, v6                                  // 00000000BA7C: 680C0C46
	s_mov_b64 exec, s[82:83]                                   // 00000000BA80: BEFE0152
	buffer_store_dwordx4 v[176:179], v6, s[40:43], 0 idxen     // 00000000BA84: E07C2000 800AB006
	s_mov_b32 exec_lo, -1                                      // 00000000BA8C: BEFE00C1
	s_mov_b32 exec_hi, -1                                      // 00000000BA90: BEFF00C1
	v_add_u32_e32 v6, s70, v6                                  // 00000000BA94: 680C0C46
	s_mov_b64 exec, s[82:83]                                   // 00000000BA98: BEFE0152
	buffer_store_dwordx4 v[180:183], v6, s[40:43], 0 idxen     // 00000000BA9C: E07C2000 800AB406
	s_mov_b32 exec_lo, -1                                      // 00000000BAA4: BEFE00C1
	s_mov_b32 exec_hi, -1                                      // 00000000BAA8: BEFF00C1
	v_add_u32_e32 v6, s70, v6                                  // 00000000BAAC: 680C0C46
	s_mul_i32 s60, 12, s70                                     // 00000000BAB0: 923C468C
	v_add_u32_e32 v6, s60, v6                                  // 00000000BAB4: 680C0C3C
	s_cmp_ge_i32 2, s72                                        // 00000000BAB8: BF034882
	s_cbranch_scc1 label_20D4                                  // 00000000BABC: BF850190
	v_mov_b32_e32 v30, v216                                    // 00000000BAC0: 7E3C03D8
	v_mov_b32_e32 v31, v217                                    // 00000000BAC4: 7E3E03D9
	v_cmp_u_f32_e64 s[78:79], v30, v30                         // 00000000BAC8: D048004E 00023D1E
	v_bfe_u32 v248, v30, 16, 1                                 // 00000000BAD0: D1C800F8 0205211E
	v_add3_u32 v248, v30, v248, v251                           // 00000000BAD8: D1FF00F8 07EFF11E
	v_cndmask_b32_e64 v28, v248, v250, s[78:79]                // 00000000BAE0: D100001C 013BF5F8
	v_lshrrev_b32_e32 v28, 16, v28                             // 00000000BAE8: 20383890
	v_cmp_u_f32_e64 s[78:79], v31, v31                         // 00000000BAEC: D048004E 00023F1F
	v_bfe_u32 v248, v31, 16, 1                                 // 00000000BAF4: D1C800F8 0205211F
	v_add3_u32 v248, v31, v248, v251                           // 00000000BAFC: D1FF00F8 07EFF11F
	v_cndmask_b32_e64 v29, v248, v250, s[78:79]                // 00000000BB04: D100001D 013BF5F8
	v_and_or_b32 v184, v29, v249, v28                          // 00000000BB0C: D20100B8 0473F31D
	v_mov_b32_e32 v30, v218                                    // 00000000BB14: 7E3C03DA
	v_mov_b32_e32 v31, v219                                    // 00000000BB18: 7E3E03DB
	v_cmp_u_f32_e64 s[78:79], v30, v30                         // 00000000BB1C: D048004E 00023D1E
	v_bfe_u32 v248, v30, 16, 1                                 // 00000000BB24: D1C800F8 0205211E
	v_add3_u32 v248, v30, v248, v251                           // 00000000BB2C: D1FF00F8 07EFF11E
	v_cndmask_b32_e64 v28, v248, v250, s[78:79]                // 00000000BB34: D100001C 013BF5F8
	v_lshrrev_b32_e32 v28, 16, v28                             // 00000000BB3C: 20383890
	v_cmp_u_f32_e64 s[78:79], v31, v31                         // 00000000BB40: D048004E 00023F1F
	v_bfe_u32 v248, v31, 16, 1                                 // 00000000BB48: D1C800F8 0205211F
	v_add3_u32 v248, v31, v248, v251                           // 00000000BB50: D1FF00F8 07EFF11F
	v_cndmask_b32_e64 v29, v248, v250, s[78:79]                // 00000000BB58: D100001D 013BF5F8
	v_and_or_b32 v185, v29, v249, v28                          // 00000000BB60: D20100B9 0473F31D
	v_mov_b32_e32 v30, v220                                    // 00000000BB68: 7E3C03DC
	v_mov_b32_e32 v31, v221                                    // 00000000BB6C: 7E3E03DD
	v_cmp_u_f32_e64 s[78:79], v30, v30                         // 00000000BB70: D048004E 00023D1E
	v_bfe_u32 v248, v30, 16, 1                                 // 00000000BB78: D1C800F8 0205211E
	v_add3_u32 v248, v30, v248, v251                           // 00000000BB80: D1FF00F8 07EFF11E
	v_cndmask_b32_e64 v28, v248, v250, s[78:79]                // 00000000BB88: D100001C 013BF5F8
	v_lshrrev_b32_e32 v28, 16, v28                             // 00000000BB90: 20383890
	v_cmp_u_f32_e64 s[78:79], v31, v31                         // 00000000BB94: D048004E 00023F1F
	v_bfe_u32 v248, v31, 16, 1                                 // 00000000BB9C: D1C800F8 0205211F
	v_add3_u32 v248, v31, v248, v251                           // 00000000BBA4: D1FF00F8 07EFF11F
	v_cndmask_b32_e64 v29, v248, v250, s[78:79]                // 00000000BBAC: D100001D 013BF5F8
	v_and_or_b32 v186, v29, v249, v28                          // 00000000BBB4: D20100BA 0473F31D
	v_mov_b32_e32 v30, v222                                    // 00000000BBBC: 7E3C03DE
	v_mov_b32_e32 v31, v223                                    // 00000000BBC0: 7E3E03DF
	v_cmp_u_f32_e64 s[78:79], v30, v30                         // 00000000BBC4: D048004E 00023D1E
	v_bfe_u32 v248, v30, 16, 1                                 // 00000000BBCC: D1C800F8 0205211E
	v_add3_u32 v248, v30, v248, v251                           // 00000000BBD4: D1FF00F8 07EFF11E
	v_cndmask_b32_e64 v28, v248, v250, s[78:79]                // 00000000BBDC: D100001C 013BF5F8
	v_lshrrev_b32_e32 v28, 16, v28                             // 00000000BBE4: 20383890
	v_cmp_u_f32_e64 s[78:79], v31, v31                         // 00000000BBE8: D048004E 00023F1F
	v_bfe_u32 v248, v31, 16, 1                                 // 00000000BBF0: D1C800F8 0205211F
	v_add3_u32 v248, v31, v248, v251                           // 00000000BBF8: D1FF00F8 07EFF11F
	v_cndmask_b32_e64 v29, v248, v250, s[78:79]                // 00000000BC00: D100001D 013BF5F8
	v_and_or_b32 v187, v29, v249, v28                          // 00000000BC08: D20100BB 0473F31D
	v_mov_b32_e32 v30, v224                                    // 00000000BC10: 7E3C03E0
	v_mov_b32_e32 v31, v225                                    // 00000000BC14: 7E3E03E1
	v_cmp_u_f32_e64 s[78:79], v30, v30                         // 00000000BC18: D048004E 00023D1E
	v_bfe_u32 v248, v30, 16, 1                                 // 00000000BC20: D1C800F8 0205211E
	v_add3_u32 v248, v30, v248, v251                           // 00000000BC28: D1FF00F8 07EFF11E
	v_cndmask_b32_e64 v28, v248, v250, s[78:79]                // 00000000BC30: D100001C 013BF5F8
	v_lshrrev_b32_e32 v28, 16, v28                             // 00000000BC38: 20383890
	v_cmp_u_f32_e64 s[78:79], v31, v31                         // 00000000BC3C: D048004E 00023F1F
	v_bfe_u32 v248, v31, 16, 1                                 // 00000000BC44: D1C800F8 0205211F
	v_add3_u32 v248, v31, v248, v251                           // 00000000BC4C: D1FF00F8 07EFF11F
	v_cndmask_b32_e64 v29, v248, v250, s[78:79]                // 00000000BC54: D100001D 013BF5F8
	v_and_or_b32 v188, v29, v249, v28                          // 00000000BC5C: D20100BC 0473F31D
	v_mov_b32_e32 v30, v226                                    // 00000000BC64: 7E3C03E2
	v_mov_b32_e32 v31, v227                                    // 00000000BC68: 7E3E03E3
	v_cmp_u_f32_e64 s[78:79], v30, v30                         // 00000000BC6C: D048004E 00023D1E
	v_bfe_u32 v248, v30, 16, 1                                 // 00000000BC74: D1C800F8 0205211E
	v_add3_u32 v248, v30, v248, v251                           // 00000000BC7C: D1FF00F8 07EFF11E
	v_cndmask_b32_e64 v28, v248, v250, s[78:79]                // 00000000BC84: D100001C 013BF5F8
	v_lshrrev_b32_e32 v28, 16, v28                             // 00000000BC8C: 20383890
	v_cmp_u_f32_e64 s[78:79], v31, v31                         // 00000000BC90: D048004E 00023F1F
	v_bfe_u32 v248, v31, 16, 1                                 // 00000000BC98: D1C800F8 0205211F
	v_add3_u32 v248, v31, v248, v251                           // 00000000BCA0: D1FF00F8 07EFF11F
	v_cndmask_b32_e64 v29, v248, v250, s[78:79]                // 00000000BCA8: D100001D 013BF5F8
	v_and_or_b32 v189, v29, v249, v28                          // 00000000BCB0: D20100BD 0473F31D
	v_mov_b32_e32 v30, v228                                    // 00000000BCB8: 7E3C03E4
	v_mov_b32_e32 v31, v229                                    // 00000000BCBC: 7E3E03E5
	v_cmp_u_f32_e64 s[78:79], v30, v30                         // 00000000BCC0: D048004E 00023D1E
	v_bfe_u32 v248, v30, 16, 1                                 // 00000000BCC8: D1C800F8 0205211E
	v_add3_u32 v248, v30, v248, v251                           // 00000000BCD0: D1FF00F8 07EFF11E
	v_cndmask_b32_e64 v28, v248, v250, s[78:79]                // 00000000BCD8: D100001C 013BF5F8
	v_lshrrev_b32_e32 v28, 16, v28                             // 00000000BCE0: 20383890
	v_cmp_u_f32_e64 s[78:79], v31, v31                         // 00000000BCE4: D048004E 00023F1F
	v_bfe_u32 v248, v31, 16, 1                                 // 00000000BCEC: D1C800F8 0205211F
	v_add3_u32 v248, v31, v248, v251                           // 00000000BCF4: D1FF00F8 07EFF11F
	v_cndmask_b32_e64 v29, v248, v250, s[78:79]                // 00000000BCFC: D100001D 013BF5F8
	v_and_or_b32 v190, v29, v249, v28                          // 00000000BD04: D20100BE 0473F31D
	v_mov_b32_e32 v30, v230                                    // 00000000BD0C: 7E3C03E6
	v_mov_b32_e32 v31, v231                                    // 00000000BD10: 7E3E03E7
	v_cmp_u_f32_e64 s[78:79], v30, v30                         // 00000000BD14: D048004E 00023D1E
	v_bfe_u32 v248, v30, 16, 1                                 // 00000000BD1C: D1C800F8 0205211E
	v_add3_u32 v248, v30, v248, v251                           // 00000000BD24: D1FF00F8 07EFF11E
	v_cndmask_b32_e64 v28, v248, v250, s[78:79]                // 00000000BD2C: D100001C 013BF5F8
	v_lshrrev_b32_e32 v28, 16, v28                             // 00000000BD34: 20383890
	v_cmp_u_f32_e64 s[78:79], v31, v31                         // 00000000BD38: D048004E 00023F1F
	v_bfe_u32 v248, v31, 16, 1                                 // 00000000BD40: D1C800F8 0205211F
	v_add3_u32 v248, v31, v248, v251                           // 00000000BD48: D1FF00F8 07EFF11F
	v_cndmask_b32_e64 v29, v248, v250, s[78:79]                // 00000000BD50: D100001D 013BF5F8
	v_and_or_b32 v191, v29, v249, v28                          // 00000000BD58: D20100BF 0473F31D
	v_mov_b32_e32 v30, v232                                    // 00000000BD60: 7E3C03E8
	v_mov_b32_e32 v31, v233                                    // 00000000BD64: 7E3E03E9
	v_cmp_u_f32_e64 s[78:79], v30, v30                         // 00000000BD68: D048004E 00023D1E
	v_bfe_u32 v248, v30, 16, 1                                 // 00000000BD70: D1C800F8 0205211E
	v_add3_u32 v248, v30, v248, v251                           // 00000000BD78: D1FF00F8 07EFF11E
	v_cndmask_b32_e64 v28, v248, v250, s[78:79]                // 00000000BD80: D100001C 013BF5F8
	v_lshrrev_b32_e32 v28, 16, v28                             // 00000000BD88: 20383890
	v_cmp_u_f32_e64 s[78:79], v31, v31                         // 00000000BD8C: D048004E 00023F1F
	v_bfe_u32 v248, v31, 16, 1                                 // 00000000BD94: D1C800F8 0205211F
	v_add3_u32 v248, v31, v248, v251                           // 00000000BD9C: D1FF00F8 07EFF11F
	v_cndmask_b32_e64 v29, v248, v250, s[78:79]                // 00000000BDA4: D100001D 013BF5F8
	v_and_or_b32 v192, v29, v249, v28                          // 00000000BDAC: D20100C0 0473F31D
	v_mov_b32_e32 v30, v234                                    // 00000000BDB4: 7E3C03EA
	v_mov_b32_e32 v31, v235                                    // 00000000BDB8: 7E3E03EB
	v_cmp_u_f32_e64 s[78:79], v30, v30                         // 00000000BDBC: D048004E 00023D1E
	v_bfe_u32 v248, v30, 16, 1                                 // 00000000BDC4: D1C800F8 0205211E
	v_add3_u32 v248, v30, v248, v251                           // 00000000BDCC: D1FF00F8 07EFF11E
	v_cndmask_b32_e64 v28, v248, v250, s[78:79]                // 00000000BDD4: D100001C 013BF5F8
	v_lshrrev_b32_e32 v28, 16, v28                             // 00000000BDDC: 20383890
	v_cmp_u_f32_e64 s[78:79], v31, v31                         // 00000000BDE0: D048004E 00023F1F
	v_bfe_u32 v248, v31, 16, 1                                 // 00000000BDE8: D1C800F8 0205211F
	v_add3_u32 v248, v31, v248, v251                           // 00000000BDF0: D1FF00F8 07EFF11F
	v_cndmask_b32_e64 v29, v248, v250, s[78:79]                // 00000000BDF8: D100001D 013BF5F8
	v_and_or_b32 v193, v29, v249, v28                          // 00000000BE00: D20100C1 0473F31D
	v_mov_b32_e32 v30, v236                                    // 00000000BE08: 7E3C03EC
	v_mov_b32_e32 v31, v237                                    // 00000000BE0C: 7E3E03ED
	v_cmp_u_f32_e64 s[78:79], v30, v30                         // 00000000BE10: D048004E 00023D1E
	v_bfe_u32 v248, v30, 16, 1                                 // 00000000BE18: D1C800F8 0205211E
	v_add3_u32 v248, v30, v248, v251                           // 00000000BE20: D1FF00F8 07EFF11E
	v_cndmask_b32_e64 v28, v248, v250, s[78:79]                // 00000000BE28: D100001C 013BF5F8
	v_lshrrev_b32_e32 v28, 16, v28                             // 00000000BE30: 20383890
	v_cmp_u_f32_e64 s[78:79], v31, v31                         // 00000000BE34: D048004E 00023F1F
	v_bfe_u32 v248, v31, 16, 1                                 // 00000000BE3C: D1C800F8 0205211F
	v_add3_u32 v248, v31, v248, v251                           // 00000000BE44: D1FF00F8 07EFF11F
	v_cndmask_b32_e64 v29, v248, v250, s[78:79]                // 00000000BE4C: D100001D 013BF5F8
	v_and_or_b32 v194, v29, v249, v28                          // 00000000BE54: D20100C2 0473F31D
	v_mov_b32_e32 v30, v238                                    // 00000000BE5C: 7E3C03EE
	v_mov_b32_e32 v31, v239                                    // 00000000BE60: 7E3E03EF
	v_cmp_u_f32_e64 s[78:79], v30, v30                         // 00000000BE64: D048004E 00023D1E
	v_bfe_u32 v248, v30, 16, 1                                 // 00000000BE6C: D1C800F8 0205211E
	v_add3_u32 v248, v30, v248, v251                           // 00000000BE74: D1FF00F8 07EFF11E
	v_cndmask_b32_e64 v28, v248, v250, s[78:79]                // 00000000BE7C: D100001C 013BF5F8
	v_lshrrev_b32_e32 v28, 16, v28                             // 00000000BE84: 20383890
	v_cmp_u_f32_e64 s[78:79], v31, v31                         // 00000000BE88: D048004E 00023F1F
	v_bfe_u32 v248, v31, 16, 1                                 // 00000000BE90: D1C800F8 0205211F
	v_add3_u32 v248, v31, v248, v251                           // 00000000BE98: D1FF00F8 07EFF11F
	v_cndmask_b32_e64 v29, v248, v250, s[78:79]                // 00000000BEA0: D100001D 013BF5F8
	v_and_or_b32 v195, v29, v249, v28                          // 00000000BEA8: D20100C3 0473F31D
	v_mov_b32_e32 v30, v240                                    // 00000000BEB0: 7E3C03F0
	v_mov_b32_e32 v31, v241                                    // 00000000BEB4: 7E3E03F1
	v_cmp_u_f32_e64 s[78:79], v30, v30                         // 00000000BEB8: D048004E 00023D1E
	v_bfe_u32 v248, v30, 16, 1                                 // 00000000BEC0: D1C800F8 0205211E
	v_add3_u32 v248, v30, v248, v251                           // 00000000BEC8: D1FF00F8 07EFF11E
	v_cndmask_b32_e64 v28, v248, v250, s[78:79]                // 00000000BED0: D100001C 013BF5F8
	v_lshrrev_b32_e32 v28, 16, v28                             // 00000000BED8: 20383890
	v_cmp_u_f32_e64 s[78:79], v31, v31                         // 00000000BEDC: D048004E 00023F1F
	v_bfe_u32 v248, v31, 16, 1                                 // 00000000BEE4: D1C800F8 0205211F
	v_add3_u32 v248, v31, v248, v251                           // 00000000BEEC: D1FF00F8 07EFF11F
	v_cndmask_b32_e64 v29, v248, v250, s[78:79]                // 00000000BEF4: D100001D 013BF5F8
	v_and_or_b32 v196, v29, v249, v28                          // 00000000BEFC: D20100C4 0473F31D
	v_mov_b32_e32 v30, v242                                    // 00000000BF04: 7E3C03F2
	v_mov_b32_e32 v31, v243                                    // 00000000BF08: 7E3E03F3
	v_cmp_u_f32_e64 s[78:79], v30, v30                         // 00000000BF0C: D048004E 00023D1E
	v_bfe_u32 v248, v30, 16, 1                                 // 00000000BF14: D1C800F8 0205211E
	v_add3_u32 v248, v30, v248, v251                           // 00000000BF1C: D1FF00F8 07EFF11E
	v_cndmask_b32_e64 v28, v248, v250, s[78:79]                // 00000000BF24: D100001C 013BF5F8
	v_lshrrev_b32_e32 v28, 16, v28                             // 00000000BF2C: 20383890
	v_cmp_u_f32_e64 s[78:79], v31, v31                         // 00000000BF30: D048004E 00023F1F
	v_bfe_u32 v248, v31, 16, 1                                 // 00000000BF38: D1C800F8 0205211F
	v_add3_u32 v248, v31, v248, v251                           // 00000000BF40: D1FF00F8 07EFF11F
	v_cndmask_b32_e64 v29, v248, v250, s[78:79]                // 00000000BF48: D100001D 013BF5F8
	v_and_or_b32 v197, v29, v249, v28                          // 00000000BF50: D20100C5 0473F31D
	v_mov_b32_e32 v30, v244                                    // 00000000BF58: 7E3C03F4
	v_mov_b32_e32 v31, v245                                    // 00000000BF5C: 7E3E03F5
	v_cmp_u_f32_e64 s[78:79], v30, v30                         // 00000000BF60: D048004E 00023D1E
	v_bfe_u32 v248, v30, 16, 1                                 // 00000000BF68: D1C800F8 0205211E
	v_add3_u32 v248, v30, v248, v251                           // 00000000BF70: D1FF00F8 07EFF11E
	v_cndmask_b32_e64 v28, v248, v250, s[78:79]                // 00000000BF78: D100001C 013BF5F8
	v_lshrrev_b32_e32 v28, 16, v28                             // 00000000BF80: 20383890
	v_cmp_u_f32_e64 s[78:79], v31, v31                         // 00000000BF84: D048004E 00023F1F
	v_bfe_u32 v248, v31, 16, 1                                 // 00000000BF8C: D1C800F8 0205211F
	v_add3_u32 v248, v31, v248, v251                           // 00000000BF94: D1FF00F8 07EFF11F
	v_cndmask_b32_e64 v29, v248, v250, s[78:79]                // 00000000BF9C: D100001D 013BF5F8
	v_and_or_b32 v198, v29, v249, v28                          // 00000000BFA4: D20100C6 0473F31D
	v_mov_b32_e32 v30, v246                                    // 00000000BFAC: 7E3C03F6
	v_mov_b32_e32 v31, v247                                    // 00000000BFB0: 7E3E03F7
	v_cmp_u_f32_e64 s[78:79], v30, v30                         // 00000000BFB4: D048004E 00023D1E
	v_bfe_u32 v248, v30, 16, 1                                 // 00000000BFBC: D1C800F8 0205211E
	v_add3_u32 v248, v30, v248, v251                           // 00000000BFC4: D1FF00F8 07EFF11E
	v_cndmask_b32_e64 v28, v248, v250, s[78:79]                // 00000000BFCC: D100001C 013BF5F8
	v_lshrrev_b32_e32 v28, 16, v28                             // 00000000BFD4: 20383890
	v_cmp_u_f32_e64 s[78:79], v31, v31                         // 00000000BFD8: D048004E 00023F1F
	v_bfe_u32 v248, v31, 16, 1                                 // 00000000BFE0: D1C800F8 0205211F
	v_add3_u32 v248, v31, v248, v251                           // 00000000BFE8: D1FF00F8 07EFF11F
	v_cndmask_b32_e64 v29, v248, v250, s[78:79]                // 00000000BFF0: D100001D 013BF5F8
	v_and_or_b32 v199, v29, v249, v28                          // 00000000BFF8: D20100C7 0473F31D
	ds_write_b64 v25, v[184:185] offset:33792                  // 00000000C000: D89A8400 0000B819
	ds_write_b64 v25, v[186:187] offset:34320                  // 00000000C008: D89A8610 0000BA19
	ds_write_b64 v25, v[188:189] offset:34848                  // 00000000C010: D89A8820 0000BC19
	ds_write_b64 v25, v[190:191] offset:35376                  // 00000000C018: D89A8A30 0000BE19
	ds_write_b64 v25, v[192:193] offset:35904                  // 00000000C020: D89A8C40 0000C019
	ds_write_b64 v25, v[194:195] offset:36432                  // 00000000C028: D89A8E50 0000C219
	ds_write_b64 v25, v[196:197] offset:36960                  // 00000000C030: D89A9060 0000C419
	ds_write_b64 v25, v[198:199] offset:37488                  // 00000000C038: D89A9270 0000C619
	s_waitcnt lgkmcnt(0)                                       // 00000000C040: BF8CC07F
	s_barrier                                                  // 00000000C044: BF8A0000
	ds_read_b64 v[184:185], v24 offset:33792                   // 00000000C048: D8EC8400 B8000018
	ds_read_b64 v[186:187], v24 offset:33920                   // 00000000C050: D8EC8480 BA000018
	ds_read_b64 v[188:189], v24 offset:33824                   // 00000000C058: D8EC8420 BC000018
	ds_read_b64 v[190:191], v24 offset:33952                   // 00000000C060: D8EC84A0 BE000018
	ds_read_b64 v[192:193], v24 offset:33856                   // 00000000C068: D8EC8440 C0000018
	ds_read_b64 v[194:195], v24 offset:33984                   // 00000000C070: D8EC84C0 C2000018
	ds_read_b64 v[196:197], v24 offset:33888                   // 00000000C078: D8EC8460 C4000018
	ds_read_b64 v[198:199], v24 offset:34016                   // 00000000C080: D8EC84E0 C6000018
	s_waitcnt lgkmcnt(0)                                       // 00000000C088: BF8CC07F
	s_mov_b32 s70, s53                                         // 00000000C08C: BEC60035
	s_mov_b64 exec, s[82:83]                                   // 00000000C090: BEFE0152
	buffer_store_dwordx4 v[184:187], v6, s[40:43], 0 idxen     // 00000000C094: E07C2000 800AB806
	s_mov_b32 exec_lo, -1                                      // 00000000C09C: BEFE00C1
	s_mov_b32 exec_hi, -1                                      // 00000000C0A0: BEFF00C1
	v_add_u32_e32 v6, s70, v6                                  // 00000000C0A4: 680C0C46
	s_mov_b64 exec, s[82:83]                                   // 00000000C0A8: BEFE0152
	buffer_store_dwordx4 v[188:191], v6, s[40:43], 0 idxen     // 00000000C0AC: E07C2000 800ABC06
	s_mov_b32 exec_lo, -1                                      // 00000000C0B4: BEFE00C1
	s_mov_b32 exec_hi, -1                                      // 00000000C0B8: BEFF00C1
	v_add_u32_e32 v6, s70, v6                                  // 00000000C0BC: 680C0C46
	s_mov_b64 exec, s[82:83]                                   // 00000000C0C0: BEFE0152
	buffer_store_dwordx4 v[192:195], v6, s[40:43], 0 idxen     // 00000000C0C4: E07C2000 800AC006
	s_mov_b32 exec_lo, -1                                      // 00000000C0CC: BEFE00C1
	s_mov_b32 exec_hi, -1                                      // 00000000C0D0: BEFF00C1
	v_add_u32_e32 v6, s70, v6                                  // 00000000C0D4: 680C0C46
	s_mov_b64 exec, s[82:83]                                   // 00000000C0D8: BEFE0152
	buffer_store_dwordx4 v[196:199], v6, s[40:43], 0 idxen     // 00000000C0DC: E07C2000 800AC406
	s_mov_b32 exec_lo, -1                                      // 00000000C0E4: BEFE00C1
	s_mov_b32 exec_hi, -1                                      // 00000000C0E8: BEFF00C1
	v_add_u32_e32 v6, s70, v6                                  // 00000000C0EC: 680C0C46
	s_mul_i32 s60, 12, s70                                     // 00000000C0F0: 923C468C
	v_add_u32_e32 v6, s60, v6                                  // 00000000C0F4: 680C0C3C
	s_cmp_ge_i32 3, s72                                        // 00000000C0F8: BF034883
	s_cbranch_scc1 label_20D4                                  // 00000000C0FC: BF850000

000000000000c100 <label_20D4>:
	s_waitcnt vmcnt(0) expcnt(0) lgkmcnt(0)                    // 00000000C100: BF8C0000
	s_sub_i32 s60, s77, 1                                      // 00000000C104: 81BC814D
	s_sub_i32 s2, s60, s2                                      // 00000000C108: 8182023C
	s_addk_i32 s75, 0x1                                        // 00000000C10C: B74B0001
	s_cmp_lt_i32 s75, s76                                      // 00000000C110: BF044C4B
	s_cbranch_scc1 label_0163                                  // 00000000C114: BF85E09D

000000000000c118 <label_20DA>:
	s_waitcnt vmcnt(0) expcnt(0) lgkmcnt(0)                    // 00000000C118: BF8C0000
	s_endpgm                                                   // 00000000C11C: BF810000
